;; amdgpu-corpus repo=ROCm/rocFFT kind=compiled arch=gfx1030 opt=O3
	.text
	.amdgcn_target "amdgcn-amd-amdhsa--gfx1030"
	.amdhsa_code_object_version 6
	.protected	bluestein_single_fwd_len272_dim1_half_op_CI_CI ; -- Begin function bluestein_single_fwd_len272_dim1_half_op_CI_CI
	.globl	bluestein_single_fwd_len272_dim1_half_op_CI_CI
	.p2align	8
	.type	bluestein_single_fwd_len272_dim1_half_op_CI_CI,@function
bluestein_single_fwd_len272_dim1_half_op_CI_CI: ; @bluestein_single_fwd_len272_dim1_half_op_CI_CI
; %bb.0:
	s_load_dwordx4 s[12:15], s[4:5], 0x28
	v_mul_u32_u24_e32 v1, 0xf10, v0
	s_mov_b32 s0, exec_lo
	v_lshrrev_b32_e32 v1, 16, v1
	v_mad_u64_u32 v[24:25], null, s6, 7, v[1:2]
	v_mov_b32_e32 v25, 0
	s_waitcnt lgkmcnt(0)
	v_cmpx_gt_u64_e64 s[12:13], v[24:25]
	s_cbranch_execz .LBB0_10
; %bb.1:
	s_clause 0x1
	s_load_dwordx4 s[8:11], s[4:5], 0x18
	s_load_dwordx4 s[0:3], s[4:5], 0x0
	v_mul_lo_u16 v1, v1, 17
	s_load_dwordx2 s[4:5], s[4:5], 0x38
                                        ; implicit-def: $vgpr94
                                        ; implicit-def: $vgpr96
	v_sub_nc_u16 v0, v0, v1
	v_and_b32_e32 v58, 0xffff, v0
	v_lshlrev_b32_e32 v62, 2, v58
	s_waitcnt lgkmcnt(0)
	s_load_dwordx4 s[16:19], s[8:9], 0x0
	s_clause 0x1
	global_load_dword v59, v62, s[0:1]
	global_load_dword v60, v62, s[0:1] offset:68
	s_waitcnt lgkmcnt(0)
	v_mad_u64_u32 v[1:2], null, s18, v24, 0
	v_mad_u64_u32 v[3:4], null, s16, v58, 0
	s_mul_i32 s7, s17, 0x44
	s_mul_hi_u32 s8, s16, 0x44
	s_mul_i32 s6, s16, 0x44
	s_add_i32 s7, s8, s7
	v_mad_u64_u32 v[5:6], null, s19, v24, v[2:3]
	v_mad_u64_u32 v[6:7], null, s17, v58, v[4:5]
	v_mov_b32_e32 v2, v5
	v_lshlrev_b64 v[1:2], 2, v[1:2]
	v_mov_b32_e32 v4, v6
	v_add_co_u32 v1, vcc_lo, s14, v1
	v_lshlrev_b64 v[3:4], 2, v[3:4]
	v_add_co_ci_u32_e32 v2, vcc_lo, s15, v2, vcc_lo
	v_add_co_u32 v1, vcc_lo, v1, v3
	v_add_co_ci_u32_e32 v2, vcc_lo, v2, v4, vcc_lo
	v_add_co_u32 v3, vcc_lo, v1, s6
	v_add_co_ci_u32_e32 v4, vcc_lo, s7, v2, vcc_lo
	s_clause 0x1
	global_load_dword v5, v[1:2], off
	global_load_dword v6, v[3:4], off
	v_add_co_u32 v1, vcc_lo, v3, s6
	v_add_co_ci_u32_e32 v2, vcc_lo, s7, v4, vcc_lo
	v_add_co_u32 v3, vcc_lo, v1, s6
	v_add_co_ci_u32_e32 v4, vcc_lo, s7, v2, vcc_lo
	global_load_dword v7, v[1:2], off
	v_add_co_u32 v1, vcc_lo, v3, s6
	v_add_co_ci_u32_e32 v2, vcc_lo, s7, v4, vcc_lo
	s_clause 0x1
	global_load_dword v57, v62, s[0:1] offset:136
	global_load_dword v56, v62, s[0:1] offset:204
	s_clause 0x1
	global_load_dword v8, v[3:4], off
	global_load_dword v9, v[1:2], off
	v_add_co_u32 v1, vcc_lo, v1, s6
	v_add_co_ci_u32_e32 v2, vcc_lo, s7, v2, vcc_lo
	s_clause 0x3
	global_load_dword v55, v62, s[0:1] offset:272
	global_load_dword v54, v62, s[0:1] offset:340
	;; [unrolled: 1-line block ×4, first 2 shown]
	v_add_co_u32 v3, vcc_lo, v1, s6
	v_add_co_ci_u32_e32 v4, vcc_lo, s7, v2, vcc_lo
	global_load_dword v10, v[1:2], off
	v_add_co_u32 v1, vcc_lo, v3, s6
	v_add_co_ci_u32_e32 v2, vcc_lo, s7, v4, vcc_lo
	global_load_dword v11, v[3:4], off
	;; [unrolled: 3-line block ×3, first 2 shown]
	v_add_co_u32 v1, vcc_lo, v3, s6
	v_add_co_ci_u32_e32 v2, vcc_lo, s7, v4, vcc_lo
	global_load_dword v51, v62, s[0:1] offset:544
	global_load_dword v13, v[3:4], off
	global_load_dword v14, v[1:2], off
	v_add_co_u32 v1, vcc_lo, v1, s6
	v_add_co_ci_u32_e32 v2, vcc_lo, s7, v2, vcc_lo
	s_clause 0x3
	global_load_dword v50, v62, s[0:1] offset:612
	global_load_dword v49, v62, s[0:1] offset:680
	;; [unrolled: 1-line block ×4, first 2 shown]
	v_add_co_u32 v3, vcc_lo, v1, s6
	v_add_co_ci_u32_e32 v4, vcc_lo, s7, v2, vcc_lo
	global_load_dword v15, v[1:2], off
	v_add_co_u32 v1, vcc_lo, v3, s6
	v_add_co_ci_u32_e32 v2, vcc_lo, s7, v4, vcc_lo
	global_load_dword v16, v[3:4], off
	;; [unrolled: 3-line block ×4, first 2 shown]
	v_add_co_u32 v3, vcc_lo, v1, s6
	v_add_co_ci_u32_e32 v4, vcc_lo, s7, v2, vcc_lo
	global_load_dword v46, v62, s[0:1] offset:884
	global_load_dword v1, v[1:2], off
	global_load_dword v2, v[3:4], off
	s_clause 0x1
	global_load_dword v44, v62, s[0:1] offset:952
	global_load_dword v43, v62, s[0:1] offset:1020
	v_mul_hi_u32 v3, 0x24924925, v24
	s_load_dwordx4 s[8:11], s[10:11], 0x0
	v_add_co_u32 v25, s6, s0, v62
	v_cmp_gt_u16_e32 vcc_lo, 16, v0
	v_lshlrev_b32_e32 v0, 4, v58
	v_add_co_ci_u32_e64 v26, null, s1, 0, s6
	v_sub_nc_u32_e32 v4, v24, v3
	v_lshrrev_b32_e32 v4, 1, v4
	v_add_nc_u32_e32 v3, v4, v3
	v_lshrrev_b32_e32 v3, 2, v3
	v_mul_lo_u32 v3, v3, 7
	v_sub_nc_u32_e32 v3, v24, v3
	v_mul_u32_u24_e32 v19, 0x110, v3
	v_lshlrev_b32_e32 v61, 2, v19
	v_add_nc_u32_e32 v45, v62, v61
	v_lshl_add_u32 v63, v58, 6, v61
	s_waitcnt vmcnt(29)
	v_lshrrev_b32_e32 v3, 16, v5
	v_mul_f16_sdwa v4, v59, v5 dst_sel:DWORD dst_unused:UNUSED_PAD src0_sel:WORD_1 src1_sel:DWORD
	s_waitcnt vmcnt(28)
	v_lshrrev_b32_e32 v21, 16, v6
	v_mul_f16_sdwa v22, v60, v6 dst_sel:DWORD dst_unused:UNUSED_PAD src0_sel:WORD_1 src1_sel:DWORD
	v_mul_f16_sdwa v20, v59, v3 dst_sel:DWORD dst_unused:UNUSED_PAD src0_sel:WORD_1 src1_sel:DWORD
	v_fma_f16 v3, v59, v3, -v4
	v_mul_f16_sdwa v4, v60, v21 dst_sel:DWORD dst_unused:UNUSED_PAD src0_sel:WORD_1 src1_sel:DWORD
	v_fma_f16 v21, v60, v21, -v22
	v_fmac_f16_e32 v20, v59, v5
	s_waitcnt vmcnt(27)
	v_lshrrev_b32_e32 v5, 16, v7
	v_fmac_f16_e32 v4, v60, v6
	s_waitcnt vmcnt(26)
	v_mul_f16_sdwa v22, v57, v7 dst_sel:DWORD dst_unused:UNUSED_PAD src0_sel:WORD_1 src1_sel:DWORD
	v_pack_b32_f16 v3, v20, v3
	s_waitcnt vmcnt(24)
	v_lshrrev_b32_e32 v20, 16, v8
	v_mul_f16_sdwa v6, v57, v5 dst_sel:DWORD dst_unused:UNUSED_PAD src0_sel:WORD_1 src1_sel:DWORD
	v_mul_f16_sdwa v23, v56, v8 dst_sel:DWORD dst_unused:UNUSED_PAD src0_sel:WORD_1 src1_sel:DWORD
	v_fma_f16 v5, v57, v5, -v22
	v_pack_b32_f16 v4, v4, v21
	s_waitcnt vmcnt(23)
	v_lshrrev_b32_e32 v21, 16, v9
	v_fmac_f16_e32 v6, v57, v7
	v_mul_f16_sdwa v7, v56, v20 dst_sel:DWORD dst_unused:UNUSED_PAD src0_sel:WORD_1 src1_sel:DWORD
	v_fma_f16 v20, v56, v20, -v23
	s_waitcnt vmcnt(22)
	v_mul_f16_sdwa v22, v55, v9 dst_sel:DWORD dst_unused:UNUSED_PAD src0_sel:WORD_1 src1_sel:DWORD
	ds_write2_b32 v45, v3, v4 offset1:17
	v_pack_b32_f16 v3, v6, v5
	v_fmac_f16_e32 v7, v56, v8
	v_mul_f16_sdwa v4, v55, v21 dst_sel:DWORD dst_unused:UNUSED_PAD src0_sel:WORD_1 src1_sel:DWORD
	s_waitcnt vmcnt(18)
	v_lshrrev_b32_e32 v5, 16, v10
	v_mul_f16_sdwa v6, v54, v10 dst_sel:DWORD dst_unused:UNUSED_PAD src0_sel:WORD_1 src1_sel:DWORD
	v_fma_f16 v8, v55, v21, -v22
	v_pack_b32_f16 v7, v7, v20
	v_fmac_f16_e32 v4, v55, v9
	v_mul_f16_sdwa v9, v54, v5 dst_sel:DWORD dst_unused:UNUSED_PAD src0_sel:WORD_1 src1_sel:DWORD
	v_fma_f16 v5, v54, v5, -v6
	s_waitcnt vmcnt(17)
	v_lshrrev_b32_e32 v6, 16, v11
	v_mul_f16_sdwa v20, v53, v11 dst_sel:DWORD dst_unused:UNUSED_PAD src0_sel:WORD_1 src1_sel:DWORD
	ds_write2_b32 v45, v3, v7 offset0:34 offset1:51
	v_pack_b32_f16 v3, v4, v8
	v_fmac_f16_e32 v9, v54, v10
	v_mul_f16_sdwa v4, v53, v6 dst_sel:DWORD dst_unused:UNUSED_PAD src0_sel:WORD_1 src1_sel:DWORD
	s_waitcnt vmcnt(16)
	v_lshrrev_b32_e32 v7, 16, v12
	v_mul_f16_sdwa v8, v52, v12 dst_sel:DWORD dst_unused:UNUSED_PAD src0_sel:WORD_1 src1_sel:DWORD
	v_fma_f16 v6, v53, v6, -v20
	v_pack_b32_f16 v5, v9, v5
	v_fmac_f16_e32 v4, v53, v11
	v_mul_f16_sdwa v9, v52, v7 dst_sel:DWORD dst_unused:UNUSED_PAD src0_sel:WORD_1 src1_sel:DWORD
	v_fma_f16 v7, v52, v7, -v8
	s_waitcnt vmcnt(14)
	v_lshrrev_b32_e32 v8, 16, v13
	v_mul_f16_sdwa v10, v51, v13 dst_sel:DWORD dst_unused:UNUSED_PAD src0_sel:WORD_1 src1_sel:DWORD
	ds_write2_b32 v45, v3, v5 offset0:68 offset1:85
	v_pack_b32_f16 v3, v4, v6
	v_fmac_f16_e32 v9, v52, v12
	v_mul_f16_sdwa v4, v51, v8 dst_sel:DWORD dst_unused:UNUSED_PAD src0_sel:WORD_1 src1_sel:DWORD
	s_waitcnt vmcnt(13)
	v_lshrrev_b32_e32 v5, 16, v14
	v_fma_f16 v6, v51, v8, -v10
	s_waitcnt vmcnt(12)
	v_mul_f16_sdwa v8, v50, v14 dst_sel:DWORD dst_unused:UNUSED_PAD src0_sel:WORD_1 src1_sel:DWORD
	v_pack_b32_f16 v7, v9, v7
	v_fmac_f16_e32 v4, v51, v13
	v_mul_f16_sdwa v9, v50, v5 dst_sel:DWORD dst_unused:UNUSED_PAD src0_sel:WORD_1 src1_sel:DWORD
	s_waitcnt vmcnt(8)
	v_lshrrev_b32_e32 v10, 16, v15
	v_mul_f16_sdwa v11, v49, v15 dst_sel:DWORD dst_unused:UNUSED_PAD src0_sel:WORD_1 src1_sel:DWORD
	v_fma_f16 v5, v50, v5, -v8
	v_pack_b32_f16 v4, v4, v6
	v_fmac_f16_e32 v9, v50, v14
	v_mul_f16_sdwa v6, v49, v10 dst_sel:DWORD dst_unused:UNUSED_PAD src0_sel:WORD_1 src1_sel:DWORD
	v_fma_f16 v8, v49, v10, -v11
	s_waitcnt vmcnt(7)
	v_lshrrev_b32_e32 v10, 16, v16
	v_mul_f16_sdwa v11, v48, v16 dst_sel:DWORD dst_unused:UNUSED_PAD src0_sel:WORD_1 src1_sel:DWORD
	v_pack_b32_f16 v5, v9, v5
	v_fmac_f16_e32 v6, v49, v15
	s_waitcnt vmcnt(6)
	v_lshrrev_b32_e32 v9, 16, v17
	v_mul_f16_sdwa v12, v48, v10 dst_sel:DWORD dst_unused:UNUSED_PAD src0_sel:WORD_1 src1_sel:DWORD
	v_fma_f16 v10, v48, v10, -v11
	v_mul_f16_sdwa v11, v47, v17 dst_sel:DWORD dst_unused:UNUSED_PAD src0_sel:WORD_1 src1_sel:DWORD
	s_waitcnt vmcnt(5)
	v_lshrrev_b32_e32 v13, 16, v18
	v_pack_b32_f16 v6, v6, v8
	v_mul_f16_sdwa v8, v47, v9 dst_sel:DWORD dst_unused:UNUSED_PAD src0_sel:WORD_1 src1_sel:DWORD
	v_fmac_f16_e32 v12, v48, v16
	v_fma_f16 v9, v47, v9, -v11
	s_waitcnt vmcnt(4)
	v_mul_f16_sdwa v11, v46, v18 dst_sel:DWORD dst_unused:UNUSED_PAD src0_sel:WORD_1 src1_sel:DWORD
	s_waitcnt vmcnt(3)
	v_lshrrev_b32_e32 v14, 16, v1
	s_waitcnt vmcnt(2)
	v_lshrrev_b32_e32 v16, 16, v2
	v_mul_f16_sdwa v15, v46, v13 dst_sel:DWORD dst_unused:UNUSED_PAD src0_sel:WORD_1 src1_sel:DWORD
	v_fmac_f16_e32 v8, v47, v17
	v_fma_f16 v11, v46, v13, -v11
	s_waitcnt vmcnt(1)
	v_mul_f16_sdwa v13, v44, v1 dst_sel:DWORD dst_unused:UNUSED_PAD src0_sel:WORD_1 src1_sel:DWORD
	v_mul_f16_sdwa v17, v44, v14 dst_sel:DWORD dst_unused:UNUSED_PAD src0_sel:WORD_1 src1_sel:DWORD
	s_waitcnt vmcnt(0)
	v_mul_f16_sdwa v20, v43, v2 dst_sel:DWORD dst_unused:UNUSED_PAD src0_sel:WORD_1 src1_sel:DWORD
	v_mul_f16_sdwa v21, v43, v16 dst_sel:DWORD dst_unused:UNUSED_PAD src0_sel:WORD_1 src1_sel:DWORD
	v_fmac_f16_e32 v15, v46, v18
	v_fma_f16 v13, v44, v14, -v13
	v_fmac_f16_e32 v17, v44, v1
	v_fma_f16 v1, v43, v16, -v20
	v_fmac_f16_e32 v21, v43, v2
	v_pack_b32_f16 v2, v12, v10
	v_pack_b32_f16 v8, v8, v9
	;; [unrolled: 1-line block ×5, first 2 shown]
	ds_write2_b32 v45, v3, v7 offset0:102 offset1:119
	ds_write2_b32 v45, v4, v5 offset0:136 offset1:153
	;; [unrolled: 1-line block ×5, first 2 shown]
	s_waitcnt lgkmcnt(0)
	s_barrier
	buffer_gl0_inv
	ds_read2_b32 v[1:2], v45 offset1:17
	ds_read2_b32 v[3:4], v45 offset0:34 offset1:51
	ds_read2_b32 v[5:6], v45 offset0:68 offset1:85
	;; [unrolled: 1-line block ×7, first 2 shown]
	v_or_b32_e32 v17, v19, v58
	s_waitcnt lgkmcnt(0)
	s_barrier
	buffer_gl0_inv
	v_lshlrev_b32_e32 v64, 2, v17
	v_pk_add_f16 v9, v1, v9 neg_lo:[0,1] neg_hi:[0,1]
	v_pk_add_f16 v11, v5, v11 neg_lo:[0,1] neg_hi:[0,1]
	v_pk_add_f16 v13, v3, v13 neg_lo:[0,1] neg_hi:[0,1]
	v_pk_add_f16 v15, v7, v15 neg_lo:[0,1] neg_hi:[0,1]
	v_pk_add_f16 v10, v2, v10 neg_lo:[0,1] neg_hi:[0,1]
	v_pk_add_f16 v14, v4, v14 neg_lo:[0,1] neg_hi:[0,1]
	v_pk_add_f16 v12, v6, v12 neg_lo:[0,1] neg_hi:[0,1]
	v_pk_add_f16 v16, v8, v16 neg_lo:[0,1] neg_hi:[0,1]
	v_sub_f16_sdwa v17, v9, v11 dst_sel:DWORD dst_unused:UNUSED_PAD src0_sel:DWORD src1_sel:WORD_1
	v_lshrrev_b32_e32 v18, 16, v9
	v_sub_f16_sdwa v19, v13, v15 dst_sel:DWORD dst_unused:UNUSED_PAD src0_sel:DWORD src1_sel:WORD_1
	v_lshrrev_b32_e32 v20, 16, v13
	v_lshrrev_b32_e32 v22, 16, v10
	;; [unrolled: 1-line block ×3, first 2 shown]
	v_pk_fma_f16 v1, v1, 2.0, v9 op_sel_hi:[1,0,1] neg_lo:[0,0,1] neg_hi:[0,0,1]
	v_pk_fma_f16 v5, v5, 2.0, v11 op_sel_hi:[1,0,1] neg_lo:[0,0,1] neg_hi:[0,0,1]
	;; [unrolled: 1-line block ×8, first 2 shown]
	v_sub_f16_sdwa v21, v10, v12 dst_sel:DWORD dst_unused:UNUSED_PAD src0_sel:DWORD src1_sel:WORD_1
	v_sub_f16_sdwa v23, v14, v16 dst_sel:DWORD dst_unused:UNUSED_PAD src0_sel:DWORD src1_sel:WORD_1
	v_add_f16_e32 v11, v18, v11
	v_add_f16_e32 v15, v20, v15
	;; [unrolled: 1-line block ×4, first 2 shown]
	v_fmamk_f16 v30, v19, 0x39a8, v17
	v_pk_add_f16 v5, v1, v5 neg_lo:[0,1] neg_hi:[0,1]
	v_fma_f16 v9, v9, 2.0, -v17
	v_pk_add_f16 v7, v3, v7 neg_lo:[0,1] neg_hi:[0,1]
	v_fma_f16 v13, v13, 2.0, -v19
	;; [unrolled: 2-line block ×4, first 2 shown]
	v_fmamk_f16 v33, v23, 0x39a8, v21
	v_fma_f16 v18, v18, 2.0, -v11
	v_fma_f16 v20, v20, 2.0, -v15
	;; [unrolled: 1-line block ×4, first 2 shown]
	v_fmac_f16_e32 v30, 0xb9a8, v15
	v_pk_fma_f16 v1, v1, 2.0, v5 op_sel_hi:[1,0,1] neg_lo:[0,0,1] neg_hi:[0,0,1]
	v_pk_fma_f16 v3, v3, 2.0, v7 op_sel_hi:[1,0,1] neg_lo:[0,0,1] neg_hi:[0,0,1]
	;; [unrolled: 1-line block ×4, first 2 shown]
	v_fmamk_f16 v37, v13, 0xb9a8, v9
	v_sub_f16_sdwa v34, v5, v7 dst_sel:DWORD dst_unused:UNUSED_PAD src0_sel:DWORD src1_sel:WORD_1
	v_lshrrev_b32_e32 v29, 16, v5
	v_fmamk_f16 v39, v15, 0x39a8, v11
	v_fmamk_f16 v15, v14, 0xb9a8, v10
	v_sub_f16_sdwa v38, v6, v8 dst_sel:DWORD dst_unused:UNUSED_PAD src0_sel:DWORD src1_sel:WORD_1
	v_lshrrev_b32_e32 v31, 16, v6
	v_fmamk_f16 v35, v16, 0x39a8, v12
	v_fmac_f16_e32 v33, 0xb9a8, v16
	v_fmamk_f16 v41, v20, 0xb9a8, v18
	v_fma_f16 v16, v17, 2.0, -v30
	v_fmamk_f16 v17, v27, 0xb9a8, v22
	v_pk_add_f16 v3, v1, v3 neg_lo:[0,1] neg_hi:[0,1]
	v_fmac_f16_e32 v37, 0xb9a8, v20
	v_add_f16_e32 v7, v29, v7
	v_fmac_f16_e32 v39, 0x39a8, v19
	v_pk_add_f16 v4, v2, v4 neg_lo:[0,1] neg_hi:[0,1]
	v_fmac_f16_e32 v15, 0xb9a8, v27
	v_add_f16_e32 v8, v31, v8
	v_fmac_f16_e32 v35, 0x39a8, v23
	v_fmamk_f16 v27, v38, 0x39a8, v34
	v_fmac_f16_e32 v41, 0x39a8, v13
	v_fmac_f16_e32 v17, 0x39a8, v14
	v_fma_f16 v19, v21, 2.0, -v33
	v_fma_f16 v5, v5, 2.0, -v34
	;; [unrolled: 1-line block ×3, first 2 shown]
	v_fmamk_f16 v28, v33, 0x3b64, v30
	v_pk_fma_f16 v21, v1, 2.0, v3 op_sel_hi:[1,0,1] neg_lo:[0,0,1] neg_hi:[0,0,1]
	v_fma_f16 v9, v9, 2.0, -v37
	v_fma_f16 v13, v29, 2.0, -v7
	;; [unrolled: 1-line block ×3, first 2 shown]
	v_pk_fma_f16 v1, v2, 2.0, v4 op_sel_hi:[1,0,1] neg_lo:[0,0,1] neg_hi:[0,0,1]
	v_fma_f16 v10, v10, 2.0, -v15
	v_fma_f16 v2, v31, 2.0, -v8
	;; [unrolled: 1-line block ×3, first 2 shown]
	v_fmamk_f16 v81, v8, 0x39a8, v7
	v_fmac_f16_e32 v27, 0xb9a8, v8
	v_fma_f16 v18, v18, 2.0, -v41
	v_fma_f16 v8, v22, 2.0, -v17
	v_fmamk_f16 v36, v19, 0xb61f, v16
	v_lshrrev_b32_e32 v14, 16, v3
	v_fmamk_f16 v32, v15, 0x361f, v37
	v_fmamk_f16 v82, v35, 0x3b64, v39
	;; [unrolled: 1-line block ×3, first 2 shown]
	v_fmac_f16_e32 v28, 0xb61f, v35
	v_fmamk_f16 v35, v6, 0xb9a8, v5
	v_fmac_f16_e32 v81, 0x39a8, v38
	v_fmamk_f16 v38, v10, 0xbb64, v9
	v_fmamk_f16 v85, v2, 0xb9a8, v13
	;; [unrolled: 1-line block ×4, first 2 shown]
	v_fmac_f16_e32 v36, 0xbb64, v12
	v_pk_add_f16 v20, v21, v1 neg_lo:[0,1] neg_hi:[0,1]
	v_sub_f16_sdwa v31, v3, v4 dst_sel:DWORD dst_unused:UNUSED_PAD src0_sel:DWORD src1_sel:WORD_1
	v_add_f16_e32 v84, v14, v4
	v_fmac_f16_e32 v32, 0xbb64, v17
	v_fmac_f16_e32 v82, 0x361f, v33
	;; [unrolled: 1-line block ×8, first 2 shown]
	v_fma_f16 v40, v16, 2.0, -v36
	v_pk_fma_f16 v16, v21, 2.0, v20 op_sel_hi:[1,0,1] neg_lo:[0,0,1] neg_hi:[0,0,1]
	v_fma_f16 v29, v3, 2.0, -v31
	v_fma_f16 v33, v34, 2.0, -v27
	;; [unrolled: 1-line block ×13, first 2 shown]
	v_pack_b32_f16 v4, v28, v82
	v_pack_b32_f16 v3, v27, v81
	;; [unrolled: 1-line block ×4, first 2 shown]
	v_lshrrev_b32_e32 v65, 16, v16
	v_pack_b32_f16 v8, v34, v88
	v_pack_b32_f16 v7, v33, v89
	;; [unrolled: 1-line block ×10, first 2 shown]
	ds_write_b128 v63, v[1:4] offset:48
	ds_write_b128 v63, v[5:8] offset:16
	;; [unrolled: 1-line block ×3, first 2 shown]
	ds_write_b128 v63, v[16:19]
	s_waitcnt lgkmcnt(0)
	s_barrier
	buffer_gl0_inv
	s_and_saveexec_b32 s6, vcc_lo
	s_cbranch_execz .LBB0_3
; %bb.2:
	ds_read2_b32 v[41:42], v64 offset1:16
	ds_read2_b32 v[39:40], v64 offset0:32 offset1:48
	ds_read2_b32 v[29:30], v64 offset0:64 offset1:80
	;; [unrolled: 1-line block ×7, first 2 shown]
	ds_read_b32 v94, v64 offset:1024
	s_waitcnt lgkmcnt(8)
	v_lshrrev_b32_e32 v65, 16, v41
	v_lshrrev_b32_e32 v95, 16, v42
	s_waitcnt lgkmcnt(7)
	v_lshrrev_b32_e32 v92, 16, v39
	v_lshrrev_b32_e32 v93, 16, v40
	;; [unrolled: 3-line block ×4, first 2 shown]
	s_waitcnt lgkmcnt(4)
	v_lshrrev_b32_e32 v90, 16, v38
	s_waitcnt lgkmcnt(3)
	v_lshrrev_b32_e32 v85, 16, v35
	v_lshrrev_b32_e32 v86, 16, v36
	s_waitcnt lgkmcnt(2)
	v_lshrrev_b32_e32 v84, 16, v31
	;; [unrolled: 3-line block ×4, first 2 shown]
	v_mov_b32_e32 v16, v41
	v_mov_b32_e32 v20, v37
.LBB0_3:
	s_or_b32 exec_lo, exec_lo, s6
	v_and_b32_e32 v0, 0xf0, v0
	v_lshrrev_b32_e32 v41, 16, v20
	v_lshlrev_b32_e32 v12, 2, v0
	s_clause 0x3
	global_load_dwordx4 v[0:3], v12, s[2:3] offset:16
	global_load_dwordx4 v[8:11], v12, s[2:3]
	global_load_dwordx4 v[4:7], v12, s[2:3] offset:32
	global_load_dwordx4 v[12:15], v12, s[2:3] offset:48
	s_waitcnt vmcnt(3)
	v_mul_f16_sdwa v75, v41, v3 dst_sel:DWORD dst_unused:UNUSED_PAD src0_sel:DWORD src1_sel:WORD_1
	s_waitcnt vmcnt(2)
	v_mul_f16_sdwa v76, v95, v8 dst_sel:DWORD dst_unused:UNUSED_PAD src0_sel:DWORD src1_sel:WORD_1
	v_mul_f16_sdwa v74, v42, v8 dst_sel:DWORD dst_unused:UNUSED_PAD src0_sel:DWORD src1_sel:WORD_1
	s_waitcnt vmcnt(0)
	v_mul_f16_sdwa v37, v94, v15 dst_sel:DWORD dst_unused:UNUSED_PAD src0_sel:DWORD src1_sel:WORD_1
	v_mul_f16_sdwa v107, v96, v15 dst_sel:DWORD dst_unused:UNUSED_PAD src0_sel:DWORD src1_sel:WORD_1
	;; [unrolled: 1-line block ×7, first 2 shown]
	v_fma_f16 v75, v20, v3, -v75
	v_fma_f16 v80, v42, v8, -v76
	v_fmac_f16_e32 v74, v95, v8
	v_fmac_f16_e32 v37, v96, v15
	v_fma_f16 v20, v94, v15, -v107
	v_mul_f16_sdwa v78, v93, v10 dst_sel:DWORD dst_unused:UNUSED_PAD src0_sel:DWORD src1_sel:WORD_1
	v_mul_f16_sdwa v72, v40, v10 dst_sel:DWORD dst_unused:UNUSED_PAD src0_sel:DWORD src1_sel:WORD_1
	;; [unrolled: 1-line block ×8, first 2 shown]
	v_fma_f16 v79, v39, v9, -v77
	v_fmac_f16_e32 v73, v92, v9
	v_fmac_f16_e32 v69, v82, v14
	v_fma_f16 v28, v28, v14, -v108
	v_sub_f16_e32 v160, v74, v37
	v_sub_f16_e32 v111, v80, v20
	v_mul_f16_sdwa v97, v87, v11 dst_sel:DWORD dst_unused:UNUSED_PAD src0_sel:DWORD src1_sel:WORD_1
	v_mul_f16_sdwa v71, v29, v11 dst_sel:DWORD dst_unused:UNUSED_PAD src0_sel:DWORD src1_sel:WORD_1
	;; [unrolled: 1-line block ×5, first 2 shown]
	v_fma_f16 v78, v40, v10, -v78
	v_fma_f16 v76, v30, v0, -v98
	;; [unrolled: 1-line block ×5, first 2 shown]
	v_fmac_f16_e32 v72, v93, v10
	v_fma_f16 v27, v27, v13, -v106
	v_fmac_f16_e32 v68, v81, v13
	v_add_f16_e32 v99, v80, v20
	v_sub_f16_e32 v159, v73, v69
	v_add_f16_e32 v104, v74, v37
	v_sub_f16_e32 v110, v79, v28
	v_mul_f16_e32 v95, 0xb5c8, v160
	v_mul_f16_e32 v100, 0xb5c8, v111
	v_mul_f16_sdwa v22, v38, v4 dst_sel:DWORD dst_unused:UNUSED_PAD src0_sel:DWORD src1_sel:WORD_1
	v_mul_f16_sdwa v102, v85, v5 dst_sel:DWORD dst_unused:UNUSED_PAD src0_sel:DWORD src1_sel:WORD_1
	;; [unrolled: 1-line block ×3, first 2 shown]
	v_fma_f16 v77, v29, v11, -v97
	v_fma_f16 v29, v32, v12, -v105
	v_fmac_f16_e32 v71, v87, v11
	v_fmac_f16_e32 v17, v41, v3
	;; [unrolled: 1-line block ×3, first 2 shown]
	v_add_f16_e32 v98, v79, v28
	v_add_f16_e32 v105, v73, v69
	v_sub_f16_e32 v162, v72, v68
	v_sub_f16_e32 v113, v78, v27
	v_mul_f16_e32 v92, 0xb964, v159
	v_mul_f16_e32 v96, 0xb964, v110
	v_fmamk_f16 v41, v99, 0x3b76, v95
	v_fma_f16 v42, v104, 0x3b76, -v100
	v_mul_f16_sdwa v67, v33, v1 dst_sel:DWORD dst_unused:UNUSED_PAD src0_sel:DWORD src1_sel:WORD_1
	v_mul_f16_sdwa v66, v34, v2 dst_sel:DWORD dst_unused:UNUSED_PAD src0_sel:DWORD src1_sel:WORD_1
	;; [unrolled: 1-line block ×5, first 2 shown]
	v_fma_f16 v34, v35, v5, -v102
	v_fmac_f16_e32 v70, v91, v0
	v_fmac_f16_e32 v22, v90, v4
	;; [unrolled: 1-line block ×3, first 2 shown]
	v_add_f16_e32 v102, v78, v27
	v_add_f16_e32 v109, v72, v68
	v_sub_f16_e32 v166, v71, v18
	v_sub_f16_e32 v106, v77, v29
	v_mul_f16_e32 v90, 0xbb29, v162
	v_mul_f16_e32 v93, 0xbb29, v113
	v_fmamk_f16 v82, v98, 0x39e9, v92
	v_fma_f16 v84, v105, 0x39e9, -v96
	v_add_f16_e32 v41, v16, v41
	v_add_f16_e32 v42, v65, v42
	v_mul_f16_sdwa v23, v35, v5 dst_sel:DWORD dst_unused:UNUSED_PAD src0_sel:DWORD src1_sel:WORD_1
	v_fma_f16 v33, v36, v6, -v103
	v_fmac_f16_e32 v67, v89, v1
	v_fmac_f16_e32 v66, v88, v2
	;; [unrolled: 1-line block ×3, first 2 shown]
	v_add_f16_e32 v103, v77, v29
	v_add_f16_e32 v108, v71, v18
	v_sub_f16_e32 v168, v70, v21
	v_sub_f16_e32 v107, v76, v30
	v_mul_f16_e32 v83, 0xbbf7, v166
	v_mul_f16_e32 v88, 0xbbf7, v106
	v_fmamk_f16 v89, v102, 0x3722, v90
	v_fma_f16 v94, v109, 0x3722, -v93
	v_add_f16_e32 v41, v82, v41
	v_add_f16_e32 v42, v84, v42
	v_fmac_f16_e32 v23, v85, v5
	v_add_f16_e32 v32, v76, v30
	v_add_f16_e32 v112, v70, v21
	v_sub_f16_e32 v172, v67, v19
	v_sub_f16_e32 v91, v40, v33
	v_mul_f16_e32 v81, 0xbbb2, v168
	v_mul_f16_e32 v85, 0xbbb2, v107
	v_fmamk_f16 v84, v103, 0x2de8, v83
	v_fma_f16 v117, v108, 0x2de8, -v88
	v_add_f16_e32 v41, v89, v41
	v_add_f16_e32 v42, v94, v42
	v_fma_f16 v38, v38, v4, -v101
	v_add_f16_e32 v35, v40, v33
	v_add_f16_e32 v114, v67, v19
	v_sub_f16_e32 v161, v66, v23
	v_sub_f16_e32 v97, v39, v34
	v_mul_f16_e32 v36, 0xba62, v172
	v_mul_f16_e32 v86, 0xba62, v91
	v_fmamk_f16 v94, v32, 0xb461, v81
	v_fma_f16 v118, v112, 0xb461, -v85
	v_add_f16_e32 v41, v84, v41
	v_add_f16_e32 v42, v117, v42
	v_add_f16_e32 v87, v39, v34
	v_add_f16_e32 v115, v66, v23
	v_sub_f16_e32 v164, v17, v22
	v_sub_f16_e32 v101, v75, v38
	v_mul_f16_e32 v82, 0xb836, v161
	v_mul_f16_e32 v89, 0xb836, v97
	v_fmamk_f16 v117, v35, 0xb8d2, v36
	v_fma_f16 v119, v114, 0xb8d2, -v86
	v_add_f16_e32 v41, v94, v41
	v_add_f16_e32 v42, v118, v42
	;; [unrolled: 1-line block ×4, first 2 shown]
	v_mul_f16_e32 v84, 0xb1e1, v164
	v_mul_f16_e32 v94, 0xb1e1, v101
	v_fmamk_f16 v118, v87, 0xbacd, v82
	v_fma_f16 v120, v115, 0xbacd, -v89
	v_add_f16_e32 v41, v117, v41
	v_add_f16_e32 v42, v119, v42
	v_fmamk_f16 v117, v31, 0xbbdd, v84
	v_fma_f16 v119, v116, 0xbbdd, -v94
	v_add_f16_e32 v41, v118, v41
	v_add_f16_e32 v42, v120, v42
	;; [unrolled: 1-line block ×4, first 2 shown]
	s_and_saveexec_b32 s2, vcc_lo
	s_cbranch_execz .LBB0_5
; %bb.4:
	v_mul_f16_e32 v135, 0x39e9, v104
	v_mul_f16_e32 v134, 0x2de8, v105
	;; [unrolled: 1-line block ×5, first 2 shown]
	v_fmamk_f16 v119, v111, 0x3964, v135
	v_fmamk_f16 v122, v110, 0x3bf7, v134
	;; [unrolled: 1-line block ×3, first 2 shown]
	v_mul_f16_e32 v121, 0xbacd, v112
	v_mul_f16_e32 v132, 0xbbf7, v159
	v_add_f16_e32 v119, v65, v119
	v_fmamk_f16 v124, v106, 0x31e1, v126
	v_mul_f16_e32 v120, 0xb461, v114
	v_mul_f16_e32 v130, 0xba62, v162
	;; [unrolled: 1-line block ×3, first 2 shown]
	v_add_f16_e32 v119, v122, v119
	v_fmamk_f16 v125, v107, 0xb836, v121
	v_fmamk_f16 v127, v98, 0x2de8, v132
	v_mul_f16_e32 v118, 0x3722, v115
	v_mul_f16_e32 v129, 0xb1e1, v166
	v_add_f16_e32 v119, v123, v119
	v_fmamk_f16 v123, v99, 0x39e9, v133
	v_mul_f16_e32 v142, 0xb8d2, v105
	v_fmamk_f16 v128, v102, 0xb8d2, v130
	v_fmamk_f16 v136, v111, 0x3b29, v143
	v_add_f16_e32 v119, v124, v119
	v_add_f16_e32 v123, v16, v123
	v_fmamk_f16 v124, v91, 0xbbb2, v120
	v_mul_f16_e32 v117, 0x3b76, v116
	v_mul_f16_e32 v122, 0x3836, v168
	v_add_f16_e32 v119, v125, v119
	v_add_f16_e32 v123, v127, v123
	v_mul_f16_e32 v139, 0xbbdd, v109
	v_fmamk_f16 v125, v97, 0xbb29, v118
	v_fmamk_f16 v127, v103, 0xbbdd, v129
	v_add_f16_e32 v119, v124, v119
	v_add_f16_e32 v123, v128, v123
	v_fmamk_f16 v128, v110, 0x3a62, v142
	v_add_f16_e32 v136, v65, v136
	v_fmamk_f16 v124, v101, 0xb5c8, v117
	v_add_f16_e32 v119, v125, v119
	v_add_f16_e32 v123, v127, v123
	v_fmamk_f16 v127, v32, 0xbacd, v122
	v_mul_f16_e32 v125, 0x3bb2, v172
	v_add_f16_e32 v128, v128, v136
	v_fmamk_f16 v136, v113, 0xb1e1, v139
	v_mul_f16_e32 v140, 0xb461, v108
	v_mul_f16_e32 v148, 0xbb29, v160
	v_add_f16_e32 v123, v127, v123
	v_fmamk_f16 v137, v35, 0xb461, v125
	v_mul_f16_e32 v127, 0x3b29, v161
	v_add_f16_e32 v128, v136, v128
	v_fmamk_f16 v136, v106, 0xbbb2, v140
	;; [unrolled: 3-line block ×4, first 2 shown]
	v_add_f16_e32 v128, v136, v128
	v_fmamk_f16 v136, v107, 0xb964, v145
	v_add_f16_e32 v138, v16, v124
	v_fmamk_f16 v141, v98, 0xb8d2, v149
	v_mul_f16_e32 v152, 0x31e1, v162
	v_mul_f16_e32 v146, 0x3b76, v114
	v_add_f16_e32 v123, v137, v123
	v_add_f16_e32 v128, v136, v128
	;; [unrolled: 1-line block ×3, first 2 shown]
	v_fmamk_f16 v137, v102, 0xbbdd, v152
	v_mul_f16_e32 v154, 0x3bb2, v166
	v_mul_f16_e32 v124, 0x35c8, v164
	v_fmamk_f16 v138, v91, 0x35c8, v146
	v_mul_f16_e32 v150, 0x2de8, v115
	v_add_f16_e32 v136, v137, v136
	v_fmamk_f16 v137, v103, 0xb461, v154
	v_mul_f16_e32 v155, 0x3964, v168
	v_fmamk_f16 v141, v31, 0x3b76, v124
	v_add_f16_e32 v128, v138, v128
	v_fmamk_f16 v138, v97, 0x3bf7, v150
	v_mul_f16_e32 v147, 0xbacd, v116
	v_add_f16_e32 v136, v137, v136
	v_fmamk_f16 v137, v32, 0x39e9, v155
	v_mul_f16_e32 v151, 0xb5c8, v172
	v_mul_f16_e32 v179, 0x2de8, v104
	v_add_f16_e32 v123, v141, v123
	v_add_f16_e32 v128, v138, v128
	;; [unrolled: 1-line block ×3, first 2 shown]
	v_fmamk_f16 v137, v35, 0x3b76, v151
	v_mul_f16_e32 v153, 0xbbf7, v161
	v_fmamk_f16 v138, v101, 0x3836, v147
	v_fmamk_f16 v141, v111, 0x3bf7, v179
	v_mul_f16_e32 v180, 0xbbdd, v105
	v_add_f16_e32 v136, v137, v136
	v_fmamk_f16 v137, v87, 0x2de8, v153
	v_add_f16_e32 v128, v138, v128
	v_add_f16_e32 v138, v65, v141
	v_fmamk_f16 v141, v110, 0x31e1, v180
	v_mul_f16_e32 v170, 0xb461, v109
	v_mul_f16_e32 v182, 0xbbf7, v160
	v_add_f16_e32 v136, v137, v136
	v_mul_f16_e32 v181, 0x3b76, v108
	v_add_f16_e32 v137, v141, v138
	v_fmamk_f16 v138, v113, 0xbbb2, v170
	v_fmamk_f16 v156, v99, 0x2de8, v182
	v_mul_f16_e32 v183, 0xb1e1, v159
	v_mul_f16_e32 v174, 0x3722, v112
	;; [unrolled: 1-line block ×3, first 2 shown]
	v_add_f16_e32 v137, v138, v137
	v_fmamk_f16 v138, v106, 0xb5c8, v181
	v_add_f16_e32 v156, v16, v156
	v_fmamk_f16 v157, v98, 0xbbdd, v183
	v_mul_f16_e32 v144, 0xb836, v164
	v_mul_f16_e32 v175, 0xbacd, v114
	v_add_f16_e32 v137, v138, v137
	v_fmamk_f16 v138, v107, 0x3b29, v174
	v_add_f16_e32 v156, v157, v156
	v_fmamk_f16 v157, v102, 0xb461, v176
	v_mul_f16_e32 v177, 0x35c8, v166
	v_fmamk_f16 v141, v31, 0xbacd, v144
	v_add_f16_e32 v137, v138, v137
	v_fmamk_f16 v138, v91, 0x3836, v175
	v_mul_f16_e32 v165, 0xb8d2, v115
	v_add_f16_e32 v156, v157, v156
	v_fmamk_f16 v157, v103, 0x3b76, v177
	v_mul_f16_e32 v178, 0xbb29, v168
	v_add_f16_e32 v137, v138, v137
	v_fmamk_f16 v138, v97, 0xba62, v165
	v_add_f16_e32 v136, v141, v136
	v_add_f16_e32 v141, v157, v156
	v_fmamk_f16 v156, v32, 0x3722, v178
	v_mul_f16_e32 v167, 0xb836, v172
	v_mul_f16_e32 v163, 0x39e9, v116
	;; [unrolled: 1-line block ×3, first 2 shown]
	v_add_f16_e32 v137, v138, v137
	v_add_f16_e32 v138, v156, v141
	v_fmamk_f16 v141, v35, 0xbacd, v167
	v_mul_f16_e32 v169, 0x3a62, v161
	v_fmamk_f16 v156, v101, 0xb964, v163
	v_fmamk_f16 v157, v111, 0x3bb2, v190
	v_mul_f16_e32 v184, 0xbacd, v105
	v_add_f16_e32 v138, v141, v138
	v_fmamk_f16 v141, v87, 0xb8d2, v169
	v_add_f16_e32 v137, v156, v137
	v_add_f16_e32 v156, v65, v157
	v_fmamk_f16 v157, v110, 0xb836, v184
	v_mul_f16_e32 v185, 0x39e9, v109
	v_mul_f16_e32 v195, 0xbbb2, v160
	v_add_f16_e32 v138, v141, v138
	v_mul_f16_e32 v189, 0x3722, v108
	v_add_f16_e32 v141, v157, v156
	v_fmamk_f16 v156, v113, 0xb964, v185
	v_fmamk_f16 v158, v99, 0xb461, v195
	v_mul_f16_e32 v196, 0x3836, v159
	v_mul_f16_e32 v191, 0xbbdd, v112
	;; [unrolled: 1-line block ×3, first 2 shown]
	v_add_f16_e32 v141, v156, v141
	v_fmamk_f16 v156, v106, 0x3b29, v189
	v_add_f16_e32 v158, v16, v158
	v_fmamk_f16 v173, v98, 0xbacd, v196
	v_mul_f16_e32 v171, 0x3964, v164
	v_mul_f16_e32 v186, 0x2de8, v114
	v_add_f16_e32 v141, v156, v141
	v_fmamk_f16 v156, v107, 0x31e1, v191
	v_add_f16_e32 v158, v173, v158
	v_fmamk_f16 v173, v102, 0x39e9, v197
	v_mul_f16_e32 v198, 0xbb29, v166
	v_fmamk_f16 v157, v31, 0x39e9, v171
	v_add_f16_e32 v141, v156, v141
	v_fmamk_f16 v156, v91, 0xbbf7, v186
	v_mul_f16_e32 v187, 0x3b76, v115
	v_add_f16_e32 v158, v173, v158
	v_fmamk_f16 v173, v103, 0x3722, v198
	v_mul_f16_e32 v193, 0xb1e1, v168
	v_add_f16_e32 v141, v156, v141
	v_fmamk_f16 v156, v97, 0x35c8, v187
	v_add_f16_e32 v138, v157, v138
	v_add_f16_e32 v157, v173, v158
	v_fmamk_f16 v158, v32, 0xbbdd, v193
	v_mul_f16_e32 v194, 0x3bf7, v172
	v_mul_f16_e32 v188, 0xb8d2, v116
	v_mul_f16_e32 v199, 0xb8d2, v104
	v_add_f16_e32 v141, v156, v141
	v_add_f16_e32 v156, v158, v157
	v_fmamk_f16 v157, v35, 0x2de8, v194
	v_mul_f16_e32 v200, 0xb5c8, v161
	v_fmamk_f16 v158, v101, 0x3a62, v188
	v_fmamk_f16 v173, v111, 0x3a62, v199
	v_mul_f16_e32 v201, 0xb461, v105
	v_add_f16_e32 v156, v157, v156
	v_fmamk_f16 v157, v87, 0x3b76, v200
	v_add_f16_e32 v141, v158, v141
	v_add_f16_e32 v158, v65, v173
	v_fmamk_f16 v173, v110, 0xbbb2, v201
	v_mul_f16_e32 v202, 0x3b76, v109
	v_mul_f16_e32 v203, 0xba62, v160
	v_add_f16_e32 v156, v157, v156
	v_mul_f16_e32 v204, 0xbacd, v108
	v_add_f16_e32 v157, v173, v158
	v_fmamk_f16 v158, v113, 0x35c8, v202
	v_fmamk_f16 v205, v99, 0xb8d2, v203
	v_mul_f16_e32 v206, 0x3bb2, v159
	v_mul_f16_e32 v207, 0x2de8, v112
	v_mul_f16_e32 v209, 0xb5c8, v162
	v_add_f16_e32 v157, v158, v157
	v_fmamk_f16 v158, v106, 0x3836, v204
	v_add_f16_e32 v205, v16, v205
	v_fmamk_f16 v208, v98, 0xb461, v206
	v_mul_f16_e32 v192, 0xba62, v164
	v_mul_f16_e32 v210, 0x39e9, v114
	v_add_f16_e32 v157, v158, v157
	v_fmamk_f16 v158, v107, 0xbbf7, v207
	v_add_f16_e32 v205, v208, v205
	v_fmamk_f16 v208, v102, 0x3b76, v209
	v_mul_f16_e32 v211, 0xb836, v166
	v_fmamk_f16 v173, v31, 0xb8d2, v192
	v_add_f16_e32 v157, v158, v157
	v_fmamk_f16 v158, v91, 0x3964, v210
	v_mul_f16_e32 v212, 0xbbdd, v115
	v_add_f16_e32 v205, v208, v205
	v_fmamk_f16 v208, v103, 0xbacd, v211
	v_mul_f16_e32 v213, 0x3bf7, v168
	v_mul_f16_e32 v215, 0xbacd, v104
	v_add_f16_e32 v157, v158, v157
	v_fmamk_f16 v158, v97, 0x31e1, v212
	v_mul_f16_e32 v214, 0x3722, v116
	v_add_f16_e32 v205, v208, v205
	v_fmamk_f16 v208, v32, 0x2de8, v213
	v_mul_f16_e32 v216, 0xb964, v172
	v_add_f16_e32 v156, v173, v156
	v_fmamk_f16 v173, v111, 0x3836, v215
	v_mul_f16_e32 v217, 0x3722, v105
	v_add_f16_e32 v157, v158, v157
	v_fmamk_f16 v158, v101, 0xbb29, v214
	v_add_f16_e32 v205, v208, v205
	v_add_f16_e32 v173, v65, v173
	v_fmamk_f16 v208, v110, 0xbb29, v217
	v_mul_f16_e32 v218, 0x2de8, v109
	v_fmamk_f16 v219, v35, 0x39e9, v216
	v_mul_f16_e32 v220, 0xb1e1, v161
	v_add_f16_e32 v157, v158, v157
	v_add_f16_e32 v158, v208, v173
	v_fmamk_f16 v173, v113, 0x3bf7, v218
	v_mul_f16_e32 v208, 0xb8d2, v108
	v_add_f16_e32 v205, v219, v205
	v_fmamk_f16 v219, v87, 0xbbdd, v220
	v_mul_f16_e32 v221, 0x3b29, v164
	;; [unrolled: 3-line block ×4, first 2 shown]
	v_add_f16_e32 v173, v173, v158
	v_mul_f16_e32 v225, 0xbbdd, v114
	v_mul_f16_e32 v228, 0xbbf7, v162
	v_add_f16_e32 v158, v219, v205
	v_fmamk_f16 v205, v99, 0xbacd, v223
	v_mul_f16_e32 v219, 0x3b29, v159
	v_fmamk_f16 v224, v107, 0x35c8, v222
	v_mul_f16_e32 v226, 0x39e9, v115
	v_mul_f16_e32 v230, 0x3a62, v166
	v_add_f16_e32 v205, v16, v205
	v_fmamk_f16 v227, v98, 0x3722, v219
	v_add_f16_e32 v173, v224, v173
	v_fmamk_f16 v224, v91, 0x31e1, v225
	v_mul_f16_e32 v229, 0xb461, v116
	v_mul_f16_e32 v232, 0xb5c8, v168
	v_add_f16_e32 v205, v227, v205
	v_fmamk_f16 v227, v102, 0x2de8, v228
	v_add_f16_e32 v173, v224, v173
	;; [unrolled: 6-line block ×4, first 2 shown]
	v_fmamk_f16 v224, v111, 0x31e1, v231
	v_fmamk_f16 v235, v110, 0xb5c8, v233
	v_mul_f16_e32 v236, 0xbacd, v109
	v_add_f16_e32 v205, v227, v205
	v_fmamk_f16 v227, v35, 0xbbdd, v234
	v_add_f16_e32 v224, v65, v224
	v_mul_f16_e32 v239, 0xb1e1, v160
	v_mul_f16_e32 v238, 0x39e9, v108
	;; [unrolled: 1-line block ×3, first 2 shown]
	v_add_f16_e32 v205, v227, v205
	v_fmamk_f16 v227, v87, 0x39e9, v237
	v_add_f16_e32 v224, v235, v224
	v_fmamk_f16 v235, v113, 0x3836, v236
	v_fmamk_f16 v241, v98, 0x3b76, v240
	v_mul_f16_e32 v162, 0xb836, v162
	v_add_f16_e32 v205, v227, v205
	v_fmamk_f16 v227, v99, 0xbbdd, v239
	v_add_f16_e32 v160, v235, v224
	v_fmamk_f16 v224, v106, 0xb964, v238
	v_mul_f16_e32 v235, 0xb8d2, v112
	v_mul_f16_e32 v166, 0x3964, v166
	v_add_f16_e32 v227, v16, v227
	v_mul_f16_e32 v242, 0xb461, v115
	v_add_f16_e32 v159, v224, v160
	v_fmamk_f16 v160, v107, 0x3a62, v235
	v_mul_f16_e32 v224, 0x3722, v114
	v_add_f16_e32 v227, v241, v227
	v_fmamk_f16 v241, v102, 0xbacd, v162
	;; [unrolled: 3-line block ×4, first 2 shown]
	v_fmamk_f16 v244, v31, 0xb461, v243
	v_add_f16_e32 v159, v160, v159
	v_fmamk_f16 v160, v97, 0x3bb2, v242
	v_mul_f16_e32 v172, 0x3b29, v172
	v_add_f16_e32 v227, v241, v227
	v_fmamk_f16 v241, v32, 0xb8d2, v168
	v_fmac_f16_e32 v231, 0xb1e1, v111
	v_add_f16_e32 v160, v160, v159
	v_add_f16_e32 v159, v244, v205
	v_fma_f16 v239, v99, 0xbbdd, -v239
	v_add_f16_e32 v205, v241, v227
	v_fmamk_f16 v227, v35, 0x3722, v172
	v_add_f16_e32 v231, v65, v231
	v_fmac_f16_e32 v233, 0x35c8, v110
	v_fmac_f16_e32 v236, 0xb836, v113
	v_fma_f16 v162, v102, 0xbacd, -v162
	v_add_f16_e32 v205, v227, v205
	v_mul_f16_e32 v227, 0xbbb2, v161
	v_add_f16_e32 v161, v16, v239
	v_fma_f16 v239, v98, 0x3b76, -v240
	v_add_f16_e32 v231, v233, v231
	v_fmac_f16_e32 v238, 0x3964, v106
	v_fma_f16 v166, v103, 0x39e9, -v166
	v_fmac_f16_e32 v235, 0xba62, v107
	v_add_f16_e32 v161, v239, v161
	v_add_f16_e32 v231, v236, v231
	v_fmac_f16_e32 v224, 0x3b29, v91
	v_mul_f16_e32 v245, 0x2de8, v116
	v_fmac_f16_e32 v242, 0xbbb2, v97
	v_add_f16_e32 v162, v162, v161
	v_add_f16_e32 v231, v238, v231
	v_fmamk_f16 v233, v87, 0xb461, v227
	v_fmamk_f16 v246, v101, 0xbbf7, v245
	v_mul_f16_e32 v164, 0x3bf7, v164
	v_add_f16_e32 v162, v166, v162
	v_fma_f16 v166, v32, 0xb8d2, -v168
	v_add_f16_e32 v168, v235, v231
	v_fmac_f16_e32 v245, 0x3bf7, v101
	v_add_f16_e32 v205, v233, v205
	v_fmamk_f16 v233, v31, 0x2de8, v164
	v_add_f16_e32 v162, v166, v162
	v_fma_f16 v166, v35, 0x3722, -v172
	v_add_f16_e32 v168, v224, v168
	v_fma_f16 v164, v31, 0x2de8, -v164
	v_fmac_f16_e32 v199, 0xba62, v111
	v_fmac_f16_e32 v201, 0x3bb2, v110
	v_add_f16_e32 v162, v166, v162
	v_fma_f16 v166, v87, 0xb461, -v227
	v_add_f16_e32 v168, v242, v168
	v_add_f16_e32 v199, v65, v199
	v_fmac_f16_e32 v202, 0xb5c8, v113
	v_fmac_f16_e32 v190, 0xbbb2, v111
	v_add_f16_e32 v162, v166, v162
	v_add_f16_e32 v166, v245, v168
	v_fma_f16 v168, v99, 0xbacd, -v223
	v_add_f16_e32 v199, v201, v199
	v_fma_f16 v201, v99, 0xb8d2, -v203
	v_add_f16_e32 v162, v164, v162
	v_add_f16_e32 v190, v65, v190
	;; [unrolled: 1-line block ×3, first 2 shown]
	v_fma_f16 v168, v98, 0x3722, -v219
	v_add_f16_e32 v199, v202, v199
	v_add_f16_e32 v201, v16, v201
	v_fma_f16 v202, v98, 0xb461, -v206
	v_fmac_f16_e32 v184, 0x3836, v110
	v_add_f16_e32 v164, v168, v164
	v_fma_f16 v168, v102, 0x2de8, -v228
	v_fma_f16 v195, v99, 0xb461, -v195
	v_add_f16_e32 v201, v202, v201
	v_fma_f16 v202, v102, 0x3b76, -v209
	v_add_f16_e32 v184, v184, v190
	v_add_f16_e32 v164, v168, v164
	v_fma_f16 v168, v103, 0xb8d2, -v230
	v_fmac_f16_e32 v185, 0x3964, v113
	v_fma_f16 v190, v35, 0x39e9, -v216
	v_add_f16_e32 v195, v16, v195
	v_fma_f16 v196, v98, 0xbacd, -v196
	v_add_f16_e32 v164, v168, v164
	;; [unrolled: 2-line block ×3, first 2 shown]
	v_fmac_f16_e32 v189, 0xbb29, v106
	v_fma_f16 v185, v87, 0xbbdd, -v220
	v_fmac_f16_e32 v191, 0xb1e1, v107
	v_add_f16_e32 v164, v168, v164
	v_fma_f16 v168, v35, 0xbbdd, -v234
	v_add_f16_e32 v184, v189, v184
	v_fmac_f16_e32 v186, 0x3bf7, v91
	v_fmac_f16_e32 v179, 0xbbf7, v111
	;; [unrolled: 1-line block ×3, first 2 shown]
	v_add_f16_e32 v164, v168, v164
	v_fma_f16 v168, v87, 0x39e9, -v237
	v_add_f16_e32 v184, v191, v184
	v_add_f16_e32 v179, v65, v179
	v_fmac_f16_e32 v170, 0x3bb2, v113
	v_fma_f16 v182, v99, 0x2de8, -v182
	v_add_f16_e32 v164, v168, v164
	v_add_f16_e32 v168, v202, v201
	v_fma_f16 v201, v103, 0xbacd, -v211
	v_add_f16_e32 v184, v186, v184
	v_fma_f16 v186, v35, 0x2de8, -v194
	v_add_f16_e32 v179, v180, v179
	v_fmac_f16_e32 v181, 0x35c8, v106
	v_add_f16_e32 v168, v201, v168
	v_fma_f16 v201, v32, 0x2de8, -v213
	v_add_f16_e32 v182, v16, v182
	v_add_f16_e32 v170, v170, v179
	v_fma_f16 v183, v98, 0xbbdd, -v183
	v_fmac_f16_e32 v174, 0xbb29, v107
	v_add_f16_e32 v168, v201, v168
	v_fmac_f16_e32 v143, 0xbb29, v111
	v_add_f16_e32 v170, v181, v170
	v_fma_f16 v176, v102, 0xb461, -v176
	v_fmac_f16_e32 v135, 0xb964, v111
	v_add_f16_e32 v168, v190, v168
	v_add_f16_e32 v190, v196, v195
	v_fma_f16 v195, v102, 0x39e9, -v197
	v_fmac_f16_e32 v217, 0x3b29, v110
	v_add_f16_e32 v170, v174, v170
	v_add_f16_e32 v168, v185, v168
	v_fma_f16 v185, v31, 0x3722, -v221
	v_add_f16_e32 v189, v195, v190
	v_fma_f16 v190, v103, 0x3722, -v198
	v_add_f16_e32 v143, v65, v143
	v_fmac_f16_e32 v142, 0xba62, v110
	v_add_f16_e32 v168, v185, v168
	v_fmac_f16_e32 v134, 0xbbf7, v110
	v_add_f16_e32 v185, v190, v189
	v_fma_f16 v189, v32, 0xbbdd, -v193
	v_add_f16_e32 v110, v65, v135
	v_fmac_f16_e32 v218, 0xbbf7, v113
	v_add_f16_e32 v142, v142, v143
	v_fmac_f16_e32 v139, 0x31e1, v113
	v_add_f16_e32 v185, v189, v185
	v_fma_f16 v148, v99, 0x3722, -v148
	v_add_f16_e32 v110, v134, v110
	v_fmac_f16_e32 v131, 0xba62, v113
	v_mul_f16_e32 v113, 0x3b76, v99
	v_add_f16_e32 v180, v186, v185
	v_fma_f16 v185, v87, 0x3b76, -v200
	v_fma_f16 v99, v99, 0x39e9, -v133
	v_add_f16_e32 v139, v139, v142
	v_fmac_f16_e32 v140, 0x3bb2, v106
	v_mul_f16_e32 v134, 0x39e9, v98
	v_add_f16_e32 v179, v185, v180
	v_fma_f16 v180, v31, 0xb8d2, -v192
	v_add_f16_e32 v110, v131, v110
	v_add_f16_e32 v99, v16, v99
	v_fmac_f16_e32 v126, 0xb1e1, v106
	v_add_f16_e32 v139, v140, v139
	v_add_f16_e32 v179, v180, v179
	;; [unrolled: 1-line block ×3, first 2 shown]
	v_mul_f16_e32 v131, 0x3722, v102
	v_add_f16_e32 v110, v126, v110
	v_fmac_f16_e32 v121, 0x3836, v107
	v_add_f16_e32 v80, v16, v80
	v_add_f16_e32 v174, v176, v180
	v_fma_f16 v176, v103, 0x3b76, -v177
	v_add_f16_e32 v74, v65, v74
	v_mul_f16_e32 v133, 0x2de8, v103
	v_fmac_f16_e32 v120, 0x3bb2, v91
	v_add_f16_e32 v79, v80, v79
	v_add_f16_e32 v143, v176, v174
	v_fma_f16 v174, v32, 0x3722, -v178
	v_add_f16_e32 v73, v74, v73
	v_fmac_f16_e32 v225, 0xb1e1, v91
	v_fmac_f16_e32 v210, 0xb964, v91
	;; [unrolled: 1-line block ×3, first 2 shown]
	v_add_f16_e32 v142, v174, v143
	v_add_f16_e32 v143, v16, v148
	v_fma_f16 v148, v98, 0xb8d2, -v149
	v_fma_f16 v98, v98, 0x2de8, -v132
	v_fmac_f16_e32 v146, 0xb5c8, v91
	v_mul_f16_e32 v132, 0xb461, v32
	v_fmac_f16_e32 v118, 0x3b29, v97
	v_add_f16_e32 v140, v148, v143
	v_fma_f16 v143, v102, 0xbbdd, -v152
	v_add_f16_e32 v98, v98, v99
	v_fma_f16 v102, v102, 0xb8d2, -v130
	v_add_f16_e32 v78, v79, v78
	v_add_f16_e32 v72, v73, v72
	;; [unrolled: 1-line block ×3, first 2 shown]
	v_fma_f16 v143, v103, 0xb461, -v154
	v_add_f16_e32 v98, v102, v98
	v_fma_f16 v102, v103, 0xbbdd, -v129
	v_add_f16_e32 v103, v121, v110
	v_fmac_f16_e32 v215, 0xb836, v111
	v_add_f16_e32 v140, v143, v140
	v_fma_f16 v143, v32, 0x39e9, -v155
	v_add_f16_e32 v91, v102, v98
	v_fma_f16 v32, v32, 0xbacd, -v122
	v_add_f16_e32 v74, v120, v103
	v_fmac_f16_e32 v208, 0x3a62, v106
	v_fmac_f16_e32 v204, 0xb836, v106
	v_fma_f16 v149, v35, 0xbacd, -v167
	v_add_f16_e32 v111, v143, v140
	v_fma_f16 v140, v35, 0x3b76, -v151
	v_mul_f16_e32 v106, 0xb8d2, v35
	v_add_f16_e32 v32, v32, v91
	v_fma_f16 v35, v35, 0xb461, -v125
	v_add_f16_e32 v73, v118, v74
	v_add_f16_e32 v74, v78, v77
	;; [unrolled: 1-line block ×3, first 2 shown]
	v_mul_f16_e32 v104, 0x3b76, v104
	v_add_f16_e32 v32, v35, v32
	v_fma_f16 v35, v87, 0x3722, -v127
	v_add_f16_e32 v72, v74, v76
	v_add_f16_e32 v70, v71, v70
	v_fmac_f16_e32 v117, 0x35c8, v101
	v_mul_f16_e32 v105, 0x39e9, v105
	v_add_f16_e32 v32, v35, v32
	v_add_f16_e32 v35, v72, v40
	;; [unrolled: 1-line block ×3, first 2 shown]
	v_sub_f16_e32 v67, v113, v95
	v_add_f16_e32 v71, v117, v73
	v_add_f16_e32 v73, v100, v104
	;; [unrolled: 1-line block ×5, first 2 shown]
	v_sub_f16_e32 v40, v134, v92
	v_add_f16_e32 v161, v233, v205
	v_add_f16_e32 v35, v35, v75
	;; [unrolled: 1-line block ×4, first 2 shown]
	v_mul_f16_e32 v109, 0x3722, v109
	v_add_f16_e32 v65, v65, v73
	v_add_f16_e32 v35, v35, v38
	;; [unrolled: 1-line block ×5, first 2 shown]
	v_sub_f16_e32 v40, v131, v90
	v_add_f16_e32 v34, v35, v34
	v_add_f16_e32 v17, v17, v23
	v_mul_f16_e32 v108, 0x2de8, v108
	v_add_f16_e32 v65, v70, v65
	v_add_f16_e32 v39, v93, v109
	;; [unrolled: 1-line block ×4, first 2 shown]
	v_sub_f16_e32 v23, v133, v83
	v_add_f16_e32 v33, v34, v33
	v_add_f16_e32 v17, v17, v19
	v_mul_f16_e32 v112, 0xb461, v112
	v_add_f16_e32 v22, v39, v65
	v_add_f16_e32 v38, v88, v108
	;; [unrolled: 1-line block ×4, first 2 shown]
	v_sub_f16_e32 v19, v132, v81
	v_add_f16_e32 v23, v33, v30
	v_add_f16_e32 v17, v17, v21
	v_mul_f16_e32 v114, 0xb8d2, v114
	v_add_f16_e32 v22, v38, v22
	v_add_f16_e32 v35, v85, v112
	v_fmac_f16_e32 v145, 0x3964, v107
	v_add_f16_e32 v199, v204, v199
	v_fmac_f16_e32 v207, 0x3bf7, v107
	;; [unrolled: 2-line block ×3, first 2 shown]
	v_add_f16_e32 v16, v19, v16
	v_sub_f16_e32 v19, v106, v36
	v_add_f16_e32 v23, v23, v29
	v_add_f16_e32 v17, v17, v18
	v_mul_f16_e32 v99, 0xbacd, v87
	v_mul_f16_e32 v115, 0xbacd, v115
	v_add_f16_e32 v22, v35, v22
	v_add_f16_e32 v21, v86, v114
	;; [unrolled: 1-line block ×4, first 2 shown]
	v_fma_f16 v145, v87, 0xb8d2, -v169
	v_add_f16_e32 v199, v207, v199
	v_add_f16_e32 v172, v222, v172
	;; [unrolled: 1-line block ×5, first 2 shown]
	v_mul_f16_e32 v130, 0xbbdd, v31
	v_mul_f16_e32 v116, 0xbbdd, v116
	v_add_f16_e32 v18, v21, v22
	v_add_f16_e32 v21, v89, v115
	v_sub_f16_e32 v22, v99, v82
	v_add_f16_e32 v170, v175, v170
	v_fmac_f16_e32 v165, 0x3a62, v97
	v_add_f16_e32 v139, v146, v139
	v_fmac_f16_e32 v150, 0xbbf7, v97
	v_add_f16_e32 v142, v145, v142
	v_fma_f16 v145, v31, 0x39e9, -v171
	v_add_f16_e32 v111, v140, v111
	v_fma_f16 v140, v87, 0x2de8, -v153
	v_add_f16_e32 v199, v210, v199
	v_fmac_f16_e32 v212, 0xb1e1, v97
	v_fmac_f16_e32 v187, 0xb5c8, v97
	v_add_f16_e32 v172, v225, v172
	v_fmac_f16_e32 v226, 0x3964, v97
	v_add_f16_e32 v19, v19, v28
	v_add_f16_e32 v17, v17, v69
	;; [unrolled: 1-line block ×5, first 2 shown]
	v_sub_f16_e32 v22, v130, v84
	v_fma_f16 v23, v31, 0x3b76, -v124
	v_add_f16_e32 v165, v165, v170
	v_fmac_f16_e32 v163, 0x3964, v101
	v_add_f16_e32 v139, v150, v139
	v_fmac_f16_e32 v147, 0xb836, v101
	v_add_f16_e32 v135, v145, v142
	v_add_f16_e32 v111, v140, v111
	v_fma_f16 v142, v31, 0xbacd, -v144
	v_add_f16_e32 v199, v212, v199
	v_fmac_f16_e32 v214, 0x3b29, v101
	v_add_f16_e32 v184, v187, v184
	v_fmac_f16_e32 v188, 0xba62, v101
	;; [unrolled: 2-line block ×3, first 2 shown]
	v_fma_f16 v140, v31, 0xb461, -v243
	v_add_f16_e32 v19, v19, v20
	v_add_f16_e32 v17, v17, v37
	;; [unrolled: 1-line block ×11, first 2 shown]
	v_pack_b32_f16 v17, v19, v17
	v_add_f16_e32 v27, v140, v164
	v_add_f16_e32 v160, v246, v160
	v_lshl_add_u32 v19, v58, 2, v61
	v_pack_b32_f16 v16, v16, v18
	v_pack_b32_f16 v18, v20, v71
	;; [unrolled: 1-line block ×6, first 2 shown]
	ds_write_b32 v64, v17
	ds_write2_b32 v19, v16, v18 offset0:16 offset1:32
	ds_write2_b32 v19, v20, v21 offset0:48 offset1:64
	;; [unrolled: 1-line block ×3, first 2 shown]
	v_pack_b32_f16 v16, v27, v172
	v_pack_b32_f16 v17, v162, v166
	;; [unrolled: 1-line block ×9, first 2 shown]
	v_perm_b32 v29, v42, v41, 0x5040100
	v_add_nc_u32_e32 v30, 0x200, v19
	ds_write2_b32 v19, v16, v17 offset0:112 offset1:128
	ds_write2_b32 v19, v18, v20 offset0:144 offset1:160
	ds_write2_b32 v19, v21, v22 offset0:176 offset1:192
	ds_write2_b32 v19, v23, v27 offset0:208 offset1:224
	ds_write2_b32 v30, v28, v29 offset0:112 offset1:128
.LBB0_5:
	s_or_b32 exec_lo, exec_lo, s2
	s_add_u32 s0, s0, 0x440
	s_addc_u32 s1, s1, 0
	s_waitcnt lgkmcnt(0)
	s_barrier
	buffer_gl0_inv
	s_clause 0xf
	global_load_dword v18, v[25:26], off offset:1088
	global_load_dword v19, v62, s[0:1] offset:68
	global_load_dword v31, v62, s[0:1] offset:136
	;; [unrolled: 1-line block ×15, first 2 shown]
	ds_read2_b32 v[16:17], v45 offset1:17
	s_waitcnt lgkmcnt(0)
	v_lshrrev_b32_e32 v20, 16, v16
	v_lshrrev_b32_e32 v21, 16, v17
	s_waitcnt vmcnt(15)
	v_mul_f16_sdwa v22, v20, v18 dst_sel:DWORD dst_unused:UNUSED_PAD src0_sel:DWORD src1_sel:WORD_1
	v_mul_f16_sdwa v23, v16, v18 dst_sel:DWORD dst_unused:UNUSED_PAD src0_sel:DWORD src1_sel:WORD_1
	s_waitcnt vmcnt(14)
	v_mul_f16_sdwa v25, v21, v19 dst_sel:DWORD dst_unused:UNUSED_PAD src0_sel:DWORD src1_sel:WORD_1
	v_mul_f16_sdwa v26, v17, v19 dst_sel:DWORD dst_unused:UNUSED_PAD src0_sel:DWORD src1_sel:WORD_1
	v_fma_f16 v16, v16, v18, -v22
	v_fmac_f16_e32 v23, v20, v18
	v_fma_f16 v17, v17, v19, -v25
	v_fmac_f16_e32 v26, v21, v19
	v_pack_b32_f16 v16, v16, v23
	v_pack_b32_f16 v17, v17, v26
	ds_write2_b32 v45, v16, v17 offset1:17
	ds_read2_b32 v[16:17], v45 offset0:34 offset1:51
	ds_read2_b32 v[18:19], v45 offset0:68 offset1:85
	;; [unrolled: 1-line block ×7, first 2 shown]
	s_waitcnt lgkmcnt(6)
	v_lshrrev_b32_e32 v67, 16, v16
	s_waitcnt vmcnt(13)
	v_mul_f16_sdwa v68, v16, v31 dst_sel:DWORD dst_unused:UNUSED_PAD src0_sel:DWORD src1_sel:WORD_1
	v_lshrrev_b32_e32 v69, 16, v17
	s_waitcnt vmcnt(12)
	v_mul_f16_sdwa v70, v17, v32 dst_sel:DWORD dst_unused:UNUSED_PAD src0_sel:DWORD src1_sel:WORD_1
	s_waitcnt lgkmcnt(5)
	v_lshrrev_b32_e32 v71, 16, v18
	s_waitcnt vmcnt(11)
	v_mul_f16_sdwa v72, v18, v33 dst_sel:DWORD dst_unused:UNUSED_PAD src0_sel:DWORD src1_sel:WORD_1
	v_lshrrev_b32_e32 v73, 16, v19
	s_waitcnt vmcnt(10)
	v_mul_f16_sdwa v74, v19, v34 dst_sel:DWORD dst_unused:UNUSED_PAD src0_sel:DWORD src1_sel:WORD_1
	;; [unrolled: 7-line block ×6, first 2 shown]
	s_waitcnt lgkmcnt(0)
	v_lshrrev_b32_e32 v91, 16, v29
	s_waitcnt vmcnt(1)
	v_mul_f16_sdwa v92, v29, v66 dst_sel:DWORD dst_unused:UNUSED_PAD src0_sel:DWORD src1_sel:WORD_1
	v_lshrrev_b32_e32 v93, 16, v30
	v_mul_f16_sdwa v95, v67, v31 dst_sel:DWORD dst_unused:UNUSED_PAD src0_sel:DWORD src1_sel:WORD_1
	v_fmac_f16_e32 v68, v67, v31
	v_mul_f16_sdwa v67, v69, v32 dst_sel:DWORD dst_unused:UNUSED_PAD src0_sel:DWORD src1_sel:WORD_1
	v_fmac_f16_e32 v70, v69, v32
	;; [unrolled: 2-line block ×7, first 2 shown]
	v_mul_f16_sdwa v79, v81, v38 dst_sel:DWORD dst_unused:UNUSED_PAD src0_sel:DWORD src1_sel:WORD_1
	s_waitcnt vmcnt(0)
	v_mul_f16_sdwa v94, v30, v62 dst_sel:DWORD dst_unused:UNUSED_PAD src0_sel:DWORD src1_sel:WORD_1
	v_fmac_f16_e32 v82, v81, v38
	v_mul_f16_sdwa v81, v83, v39 dst_sel:DWORD dst_unused:UNUSED_PAD src0_sel:DWORD src1_sel:WORD_1
	v_fmac_f16_e32 v84, v83, v39
	;; [unrolled: 2-line block ×6, first 2 shown]
	v_mul_f16_sdwa v91, v93, v62 dst_sel:DWORD dst_unused:UNUSED_PAD src0_sel:DWORD src1_sel:WORD_1
	v_fma_f16 v16, v16, v31, -v95
	v_fma_f16 v17, v17, v32, -v67
	;; [unrolled: 1-line block ×8, first 2 shown]
	v_fmac_f16_e32 v94, v93, v62
	v_fma_f16 v25, v25, v39, -v81
	v_fma_f16 v26, v26, v40, -v83
	;; [unrolled: 1-line block ×6, first 2 shown]
	v_pack_b32_f16 v16, v16, v68
	v_pack_b32_f16 v17, v17, v70
	v_pack_b32_f16 v18, v18, v72
	v_pack_b32_f16 v19, v19, v74
	v_pack_b32_f16 v20, v20, v76
	v_pack_b32_f16 v21, v21, v78
	v_pack_b32_f16 v22, v22, v80
	v_pack_b32_f16 v23, v23, v82
	v_pack_b32_f16 v25, v25, v84
	v_pack_b32_f16 v26, v26, v86
	v_pack_b32_f16 v27, v27, v88
	v_pack_b32_f16 v28, v28, v90
	v_pack_b32_f16 v29, v29, v92
	v_pack_b32_f16 v30, v30, v94
	ds_write2_b32 v45, v16, v17 offset0:34 offset1:51
	ds_write2_b32 v45, v18, v19 offset0:68 offset1:85
	;; [unrolled: 1-line block ×7, first 2 shown]
	s_waitcnt lgkmcnt(0)
	s_barrier
	buffer_gl0_inv
	ds_read2_b32 v[16:17], v45 offset1:17
	ds_read2_b32 v[18:19], v45 offset0:34 offset1:51
	ds_read2_b32 v[20:21], v45 offset0:68 offset1:85
	;; [unrolled: 1-line block ×7, first 2 shown]
	s_waitcnt lgkmcnt(0)
	s_barrier
	buffer_gl0_inv
	v_pk_add_f16 v25, v16, v25 neg_lo:[0,1] neg_hi:[0,1]
	v_pk_add_f16 v26, v17, v26 neg_lo:[0,1] neg_hi:[0,1]
	;; [unrolled: 1-line block ×8, first 2 shown]
	v_lshrrev_b32_e32 v34, 16, v25
	v_lshrrev_b32_e32 v36, 16, v29
	;; [unrolled: 1-line block ×4, first 2 shown]
	v_pk_fma_f16 v16, v16, 2.0, v25 op_sel_hi:[1,0,1] neg_lo:[0,0,1] neg_hi:[0,0,1]
	v_pk_fma_f16 v20, v20, 2.0, v27 op_sel_hi:[1,0,1] neg_lo:[0,0,1] neg_hi:[0,0,1]
	;; [unrolled: 1-line block ×8, first 2 shown]
	v_add_f16_sdwa v33, v25, v27 dst_sel:DWORD dst_unused:UNUSED_PAD src0_sel:DWORD src1_sel:WORD_1
	v_add_f16_sdwa v35, v29, v31 dst_sel:DWORD dst_unused:UNUSED_PAD src0_sel:DWORD src1_sel:WORD_1
	;; [unrolled: 1-line block ×4, first 2 shown]
	v_sub_f16_e32 v27, v34, v27
	v_sub_f16_e32 v31, v36, v31
	v_sub_f16_e32 v28, v38, v28
	v_sub_f16_e32 v32, v40, v32
	v_pk_add_f16 v20, v16, v20 neg_lo:[0,1] neg_hi:[0,1]
	v_fma_f16 v25, v25, 2.0, -v33
	v_pk_add_f16 v22, v18, v22 neg_lo:[0,1] neg_hi:[0,1]
	v_fma_f16 v29, v29, 2.0, -v35
	;; [unrolled: 2-line block ×4, first 2 shown]
	v_fmamk_f16 v62, v35, 0x39a8, v33
	v_fmamk_f16 v65, v39, 0x39a8, v37
	v_fma_f16 v64, v34, 2.0, -v27
	v_fma_f16 v34, v36, 2.0, -v31
	;; [unrolled: 1-line block ×4, first 2 shown]
	v_fmamk_f16 v70, v31, 0x39a8, v27
	v_fmamk_f16 v40, v29, 0xb9a8, v25
	v_add_f16_sdwa v67, v20, v22 dst_sel:DWORD dst_unused:UNUSED_PAD src0_sel:DWORD src1_sel:WORD_1
	v_lshrrev_b32_e32 v66, 16, v20
	v_fmac_f16_e32 v62, 0x39a8, v31
	v_fmamk_f16 v71, v30, 0xb9a8, v26
	v_add_f16_sdwa v74, v21, v23 dst_sel:DWORD dst_unused:UNUSED_PAD src0_sel:DWORD src1_sel:WORD_1
	v_lshrrev_b32_e32 v31, 16, v21
	v_fmamk_f16 v72, v32, 0x39a8, v28
	v_fmac_f16_e32 v65, 0x39a8, v32
	v_fmamk_f16 v76, v34, 0xb9a8, v64
	v_fmac_f16_e32 v70, 0xb9a8, v35
	v_fmamk_f16 v35, v38, 0xb9a8, v36
	v_pk_fma_f16 v16, v16, 2.0, v20 op_sel_hi:[1,0,1] neg_lo:[0,0,1] neg_hi:[0,0,1]
	v_pk_fma_f16 v18, v18, 2.0, v22 op_sel_hi:[1,0,1] neg_lo:[0,0,1] neg_hi:[0,0,1]
	;; [unrolled: 1-line block ×4, first 2 shown]
	v_fmac_f16_e32 v40, 0x39a8, v34
	v_sub_f16_e32 v22, v66, v22
	v_fma_f16 v32, v20, 2.0, -v67
	v_fmac_f16_e32 v71, 0x39a8, v38
	v_sub_f16_e32 v20, v31, v23
	v_fma_f16 v21, v21, 2.0, -v74
	v_fmac_f16_e32 v72, 0xb9a8, v39
	v_fma_f16 v23, v37, 2.0, -v65
	v_fmamk_f16 v37, v74, 0x39a8, v67
	v_fmac_f16_e32 v76, 0xb9a8, v29
	v_fmac_f16_e32 v35, 0xb9a8, v30
	v_pk_add_f16 v18, v16, v18 neg_lo:[0,1] neg_hi:[0,1]
	v_pk_add_f16 v19, v17, v19 neg_lo:[0,1] neg_hi:[0,1]
	v_fma_f16 v75, v33, 2.0, -v62
	v_fma_f16 v25, v25, 2.0, -v40
	;; [unrolled: 1-line block ×7, first 2 shown]
	v_fmamk_f16 v27, v21, 0xb9a8, v32
	v_fmac_f16_e32 v37, 0x39a8, v20
	v_fma_f16 v83, v64, 2.0, -v76
	v_fma_f16 v36, v36, 2.0, -v35
	v_pk_fma_f16 v16, v16, 2.0, v18 op_sel_hi:[1,0,1] neg_lo:[0,0,1] neg_hi:[0,0,1]
	v_pk_fma_f16 v17, v17, 2.0, v19 op_sel_hi:[1,0,1] neg_lo:[0,0,1] neg_hi:[0,0,1]
	v_fmamk_f16 v38, v65, 0x3b64, v62
	v_lshrrev_b32_e32 v78, 16, v18
	v_fmamk_f16 v34, v71, 0x361f, v40
	v_fmamk_f16 v69, v20, 0x39a8, v22
	;; [unrolled: 1-line block ×7, first 2 shown]
	v_fmac_f16_e32 v27, 0x39a8, v29
	v_fmamk_f16 v66, v30, 0xb61f, v79
	v_fma_f16 v29, v67, 2.0, -v37
	v_fmamk_f16 v67, v36, 0xbb64, v83
	v_pk_add_f16 v20, v16, v17 neg_lo:[0,1] neg_hi:[0,1]
	v_add_f16_sdwa v33, v18, v19 dst_sel:DWORD dst_unused:UNUSED_PAD src0_sel:DWORD src1_sel:WORD_1
	v_fmac_f16_e32 v38, 0x361f, v72
	v_sub_f16_e32 v72, v78, v19
	v_fmac_f16_e32 v34, 0x3b64, v35
	v_fmac_f16_e32 v69, 0xb9a8, v74
	;; [unrolled: 1-line block ×9, first 2 shown]
	v_pk_fma_f16 v16, v16, 2.0, v20 op_sel_hi:[1,0,1] neg_lo:[0,0,1] neg_hi:[0,0,1]
	v_fma_f16 v31, v18, 2.0, -v33
	v_fma_f16 v30, v62, 2.0, -v38
	;; [unrolled: 1-line block ×13, first 2 shown]
	v_pack_b32_f16 v81, v38, v68
	v_pack_b32_f16 v80, v37, v69
	;; [unrolled: 1-line block ×4, first 2 shown]
	v_lshrrev_b32_e32 v62, 16, v16
	v_pack_b32_f16 v85, v30, v70
	v_pack_b32_f16 v84, v29, v71
	;; [unrolled: 1-line block ×10, first 2 shown]
	ds_write_b128 v63, v[78:81] offset:48
	ds_write_b128 v63, v[82:85] offset:16
	;; [unrolled: 1-line block ×3, first 2 shown]
	ds_write_b128 v63, v[16:19]
	s_waitcnt lgkmcnt(0)
	s_barrier
	buffer_gl0_inv
	s_and_saveexec_b32 s0, vcc_lo
	s_cbranch_execz .LBB0_7
; %bb.6:
	ds_read2_b32 v[39:40], v45 offset1:16
	ds_read2_b32 v[35:36], v45 offset0:32 offset1:48
	ds_read2_b32 v[31:32], v45 offset0:64 offset1:80
	ds_read2_b32 v[29:30], v45 offset0:96 offset1:112
	ds_read2_b32 v[25:26], v45 offset0:128 offset1:144
	ds_read2_b32 v[27:28], v45 offset0:160 offset1:176
	ds_read2_b32 v[33:34], v45 offset0:192 offset1:208
	ds_read2_b32 v[37:38], v45 offset0:224 offset1:240
	ds_read_b32 v41, v45 offset:1024
	s_waitcnt lgkmcnt(8)
	v_lshrrev_b32_e32 v62, 16, v39
	v_lshrrev_b32_e32 v65, 16, v40
	s_waitcnt lgkmcnt(7)
	v_lshrrev_b32_e32 v77, 16, v35
	v_lshrrev_b32_e32 v75, 16, v36
	;; [unrolled: 3-line block ×4, first 2 shown]
	s_waitcnt lgkmcnt(4)
	v_lshrrev_b32_e32 v67, 16, v26
	s_waitcnt lgkmcnt(3)
	v_lshrrev_b32_e32 v64, 16, v27
	v_lshrrev_b32_e32 v66, 16, v28
	s_waitcnt lgkmcnt(2)
	v_lshrrev_b32_e32 v72, 16, v33
	;; [unrolled: 3-line block ×4, first 2 shown]
	v_mov_b32_e32 v16, v39
	v_mov_b32_e32 v20, v25
.LBB0_7:
	s_or_b32 exec_lo, exec_lo, s0
	s_and_saveexec_b32 s0, vcc_lo
	s_cbranch_execz .LBB0_9
; %bb.8:
	v_mul_f16_sdwa v39, v8, v65 dst_sel:DWORD dst_unused:UNUSED_PAD src0_sel:WORD_1 src1_sel:DWORD
	v_mul_f16_sdwa v17, v15, v42 dst_sel:DWORD dst_unused:UNUSED_PAD src0_sel:WORD_1 src1_sel:DWORD
	;; [unrolled: 1-line block ×5, first 2 shown]
	v_fmac_f16_e32 v39, v8, v40
	v_fmac_f16_e32 v17, v15, v41
	v_mul_f16_sdwa v18, v14, v68 dst_sel:DWORD dst_unused:UNUSED_PAD src0_sel:WORD_1 src1_sel:DWORD
	v_fma_f16 v15, v15, v42, -v19
	v_fma_f16 v40, v8, v65, -v21
	v_mul_f16_sdwa v8, v14, v38 dst_sel:DWORD dst_unused:UNUSED_PAD src0_sel:WORD_1 src1_sel:DWORD
	v_sub_f16_e32 v21, v39, v17
	v_fmac_f16_e32 v25, v9, v35
	v_fmac_f16_e32 v18, v14, v38
	v_mul_f16_sdwa v23, v9, v35 dst_sel:DWORD dst_unused:UNUSED_PAD src0_sel:WORD_1 src1_sel:DWORD
	v_add_f16_e32 v65, v15, v40
	v_mul_f16_e32 v78, 0xb964, v21
	v_mul_f16_sdwa v35, v10, v75 dst_sel:DWORD dst_unused:UNUSED_PAD src0_sel:WORD_1 src1_sel:DWORD
	v_mul_f16_sdwa v19, v13, v69 dst_sel:DWORD dst_unused:UNUSED_PAD src0_sel:WORD_1 src1_sel:DWORD
	v_sub_f16_e32 v22, v25, v18
	v_fma_f16 v8, v14, v68, -v8
	v_fma_f16 v38, v9, v77, -v23
	v_mul_f16_sdwa v23, v10, v36 dst_sel:DWORD dst_unused:UNUSED_PAD src0_sel:WORD_1 src1_sel:DWORD
	v_fmamk_f16 v41, v65, 0x39e9, v78
	v_fmac_f16_e32 v35, v10, v36
	v_fmac_f16_e32 v19, v13, v37
	v_mul_f16_sdwa v9, v13, v37 dst_sel:DWORD dst_unused:UNUSED_PAD src0_sel:WORD_1 src1_sel:DWORD
	v_mul_f16_e32 v82, 0xbbf7, v22
	v_add_f16_e32 v68, v8, v38
	v_fma_f16 v36, v10, v75, -v23
	v_mul_f16_sdwa v37, v11, v74 dst_sel:DWORD dst_unused:UNUSED_PAD src0_sel:WORD_1 src1_sel:DWORD
	v_mul_f16_sdwa v10, v12, v73 dst_sel:DWORD dst_unused:UNUSED_PAD src0_sel:WORD_1 src1_sel:DWORD
	v_sub_f16_e32 v14, v35, v19
	v_fma_f16 v9, v13, v69, -v9
	v_add_f16_e32 v13, v62, v41
	v_fmamk_f16 v23, v68, 0x2de8, v82
	v_fmac_f16_e32 v37, v11, v31
	v_fmac_f16_e32 v10, v12, v34
	v_mul_f16_sdwa v34, v12, v34 dst_sel:DWORD dst_unused:UNUSED_PAD src0_sel:WORD_1 src1_sel:DWORD
	v_mul_f16_sdwa v63, v11, v31 dst_sel:DWORD dst_unused:UNUSED_PAD src0_sel:WORD_1 src1_sel:DWORD
	v_mul_f16_e32 v84, 0xba62, v14
	v_add_f16_e32 v69, v9, v36
	v_add_f16_e32 v41, v23, v13
	v_mul_f16_sdwa v31, v0, v76 dst_sel:DWORD dst_unused:UNUSED_PAD src0_sel:WORD_1 src1_sel:DWORD
	v_mul_f16_sdwa v13, v7, v72 dst_sel:DWORD dst_unused:UNUSED_PAD src0_sel:WORD_1 src1_sel:DWORD
	v_sub_f16_e32 v23, v37, v10
	v_fma_f16 v12, v12, v73, -v34
	v_fma_f16 v34, v11, v74, -v63
	v_fmamk_f16 v42, v69, 0xb8d2, v84
	v_fmac_f16_e32 v31, v0, v32
	v_fmac_f16_e32 v13, v7, v33
	v_mul_f16_sdwa v33, v7, v33 dst_sel:DWORD dst_unused:UNUSED_PAD src0_sel:WORD_1 src1_sel:DWORD
	v_mul_f16_sdwa v32, v0, v32 dst_sel:DWORD dst_unused:UNUSED_PAD src0_sel:WORD_1 src1_sel:DWORD
	v_mul_f16_e32 v94, 0xb1e1, v23
	v_add_f16_e32 v75, v12, v34
	v_add_f16_e32 v41, v42, v41
	v_fma_f16 v7, v7, v72, -v33
	v_fma_f16 v32, v0, v76, -v32
	v_mul_f16_sdwa v33, v1, v71 dst_sel:DWORD dst_unused:UNUSED_PAD src0_sel:WORD_1 src1_sel:DWORD
	v_fmamk_f16 v42, v75, 0xbbdd, v94
	v_mul_f16_sdwa v0, v6, v66 dst_sel:DWORD dst_unused:UNUSED_PAD src0_sel:WORD_1 src1_sel:DWORD
	v_sub_f16_e32 v11, v31, v13
	v_mul_f16_sdwa v73, v1, v29 dst_sel:DWORD dst_unused:UNUSED_PAD src0_sel:WORD_1 src1_sel:DWORD
	v_fmac_f16_e32 v33, v1, v29
	v_add_f16_e32 v63, v42, v41
	v_fmac_f16_e32 v0, v6, v28
	v_mul_f16_sdwa v42, v6, v28 dst_sel:DWORD dst_unused:UNUSED_PAD src0_sel:WORD_1 src1_sel:DWORD
	v_mul_f16_sdwa v41, v2, v70 dst_sel:DWORD dst_unused:UNUSED_PAD src0_sel:WORD_1 src1_sel:DWORD
	;; [unrolled: 1-line block ×3, first 2 shown]
	v_mul_f16_e32 v92, 0x3836, v11
	v_add_f16_e32 v76, v7, v32
	v_sub_f16_e32 v28, v33, v0
	v_fma_f16 v6, v6, v66, -v42
	v_fma_f16 v42, v1, v71, -v73
	v_fmac_f16_e32 v41, v2, v30
	v_fmac_f16_e32 v29, v5, v27
	v_mul_f16_sdwa v27, v5, v27 dst_sel:DWORD dst_unused:UNUSED_PAD src0_sel:WORD_1 src1_sel:DWORD
	v_mul_f16_sdwa v30, v2, v30 dst_sel:DWORD dst_unused:UNUSED_PAD src0_sel:WORD_1 src1_sel:DWORD
	v_fmamk_f16 v72, v76, 0xbacd, v92
	v_mul_f16_e32 v95, 0x3bb2, v28
	v_add_f16_e32 v83, v6, v42
	v_sub_f16_e32 v1, v41, v29
	v_fma_f16 v5, v5, v64, -v27
	v_fma_f16 v64, v2, v70, -v30
	v_add_f16_e32 v2, v72, v63
	v_fmamk_f16 v27, v83, 0xb461, v95
	v_mul_f16_e32 v93, 0x3b29, v1
	v_sub_f16_e32 v89, v40, v15
	v_add_f16_e32 v71, v5, v64
	v_sub_f16_e32 v91, v38, v8
	v_add_f16_e32 v2, v27, v2
	v_add_f16_e32 v27, v17, v39
	v_mul_f16_e32 v103, 0xb964, v89
	v_fmamk_f16 v30, v71, 0x3722, v93
	v_mul_f16_e32 v97, 0xbbf7, v91
	v_sub_f16_e32 v79, v36, v9
	v_lshrrev_b32_e32 v72, 16, v20
	v_mul_f16_sdwa v66, v4, v67 dst_sel:DWORD dst_unused:UNUSED_PAD src0_sel:WORD_1 src1_sel:DWORD
	v_add_f16_e32 v73, v30, v2
	v_fma_f16 v2, v27, 0x39e9, -v103
	v_add_f16_e32 v30, v18, v25
	v_add_f16_e32 v63, v19, v35
	v_mul_f16_e32 v98, 0xba62, v79
	v_sub_f16_e32 v80, v34, v12
	v_add_f16_e32 v74, v16, v2
	v_fma_f16 v77, v30, 0x2de8, -v97
	v_mul_f16_sdwa v70, v3, v72 dst_sel:DWORD dst_unused:UNUSED_PAD src0_sel:WORD_1 src1_sel:DWORD
	v_fmac_f16_e32 v66, v4, v26
	v_mul_f16_sdwa v81, v4, v26 dst_sel:DWORD dst_unused:UNUSED_PAD src0_sel:WORD_1 src1_sel:DWORD
	v_fma_f16 v85, v63, 0xb8d2, -v98
	v_add_f16_e32 v77, v77, v74
	v_add_f16_e32 v26, v10, v37
	v_mul_f16_e32 v100, 0xb1e1, v80
	v_fmac_f16_e32 v70, v3, v20
	v_fma_f16 v74, v4, v67, -v81
	v_sub_f16_e32 v81, v32, v7
	v_mul_f16_sdwa v20, v3, v20 dst_sel:DWORD dst_unused:UNUSED_PAD src0_sel:WORD_1 src1_sel:DWORD
	v_add_f16_e32 v67, v85, v77
	v_fma_f16 v85, v26, 0xbbdd, -v100
	v_add_f16_e32 v4, v13, v31
	v_mul_f16_e32 v102, 0x3836, v81
	v_fma_f16 v77, v3, v72, -v20
	v_mul_f16_e32 v118, 0xbb29, v21
	v_add_f16_e32 v3, v85, v67
	v_sub_f16_e32 v85, v42, v6
	v_sub_f16_e32 v2, v70, v66
	v_fma_f16 v67, v4, 0xbacd, -v102
	v_add_f16_e32 v20, v0, v33
	v_sub_f16_e32 v88, v64, v5
	v_mul_f16_e32 v105, 0x3bb2, v85
	v_fmamk_f16 v72, v65, 0x3722, v118
	v_mul_f16_e32 v119, 0xba62, v22
	v_mul_f16_e32 v99, 0x35c8, v2
	v_add_f16_e32 v86, v74, v77
	v_add_f16_e32 v3, v67, v3
	v_fma_f16 v87, v20, 0xb461, -v105
	v_add_f16_e32 v67, v29, v41
	v_mul_f16_e32 v104, 0x3b29, v88
	v_add_f16_e32 v72, v62, v72
	v_fmamk_f16 v90, v68, 0xb8d2, v119
	v_mul_f16_e32 v113, 0x31e1, v14
	v_fmamk_f16 v96, v86, 0x3b76, v99
	v_add_f16_e32 v87, v87, v3
	v_fma_f16 v101, v67, 0x3722, -v104
	v_add_f16_e32 v72, v90, v72
	v_fmamk_f16 v90, v69, 0xbbdd, v113
	v_mul_f16_e32 v114, 0x3bb2, v23
	v_add_f16_e32 v3, v96, v73
	v_add_f16_e32 v73, v101, v87
	v_mul_f16_e32 v112, 0x3964, v11
	v_add_f16_e32 v87, v90, v72
	v_fmamk_f16 v96, v75, 0xb461, v114
	v_mul_f16_e32 v124, 0xbb29, v89
	v_mul_f16_e32 v110, 0xb5c8, v28
	;; [unrolled: 1-line block ×3, first 2 shown]
	v_sub_f16_e32 v90, v77, v74
	v_add_f16_e32 v87, v96, v87
	v_fmamk_f16 v96, v76, 0x39e9, v112
	v_fma_f16 v101, v27, 0x3722, -v124
	v_mul_f16_e32 v111, 0xbbf7, v1
	v_fma_f16 v106, v30, 0xb8d2, -v125
	v_mul_f16_e32 v115, 0x31e1, v79
	v_add_f16_e32 v87, v96, v87
	v_fmamk_f16 v96, v83, 0x3b76, v110
	v_add_f16_e32 v101, v16, v101
	v_add_f16_e32 v72, v66, v70
	v_mul_f16_e32 v107, 0x35c8, v90
	v_mul_f16_e32 v116, 0x3bb2, v80
	v_add_f16_e32 v87, v96, v87
	v_fmamk_f16 v96, v71, 0x2de8, v111
	v_add_f16_e32 v101, v106, v101
	v_fma_f16 v106, v63, 0xbbdd, -v115
	v_mul_f16_e32 v135, 0xbbf7, v21
	v_fma_f16 v108, v72, 0x3b76, -v107
	v_add_f16_e32 v87, v96, v87
	v_mul_f16_e32 v123, 0x3964, v81
	v_add_f16_e32 v96, v106, v101
	v_fma_f16 v101, v26, 0xb461, -v116
	v_fmamk_f16 v106, v65, 0x2de8, v135
	v_mul_f16_e32 v136, 0xb1e1, v22
	v_add_f16_e32 v73, v108, v73
	v_mul_f16_e32 v126, 0xb5c8, v85
	v_add_f16_e32 v96, v101, v96
	v_fma_f16 v101, v4, 0x39e9, -v123
	v_add_f16_e32 v106, v62, v106
	v_fmamk_f16 v108, v68, 0xbbdd, v136
	v_mul_f16_e32 v139, 0x3bb2, v14
	v_mul_f16_e32 v120, 0xbbf7, v88
	v_add_f16_e32 v96, v101, v96
	v_fma_f16 v101, v20, 0x3b76, -v126
	v_add_f16_e32 v106, v108, v106
	v_fmamk_f16 v108, v69, 0xb461, v139
	v_mul_f16_e32 v130, 0x35c8, v23
	;; [unrolled: 6-line block ×3, first 2 shown]
	v_mul_f16_e32 v141, 0xbbf7, v89
	v_fmamk_f16 v109, v86, 0xbacd, v122
	v_add_f16_e32 v96, v101, v96
	v_add_f16_e32 v101, v108, v106
	v_fmamk_f16 v106, v76, 0x3722, v131
	v_mul_f16_e32 v137, 0xb836, v28
	v_fma_f16 v108, v27, 0x2de8, -v141
	v_mul_f16_e32 v142, 0xb1e1, v91
	v_add_f16_e32 v87, v109, v87
	v_add_f16_e32 v101, v106, v101
	v_fmamk_f16 v106, v83, 0xbacd, v137
	v_mul_f16_e32 v138, 0x3a62, v1
	v_add_f16_e32 v108, v16, v108
	v_fma_f16 v109, v30, 0xbbdd, -v142
	v_mul_f16_e32 v143, 0x3bb2, v79
	v_mul_f16_e32 v121, 0xb836, v90
	v_add_f16_e32 v101, v106, v101
	v_fmamk_f16 v106, v71, 0xb8d2, v138
	v_add_f16_e32 v108, v109, v108
	v_fma_f16 v109, v63, 0xb461, -v143
	v_mul_f16_e32 v132, 0x35c8, v80
	v_mul_f16_e32 v158, 0xbbb2, v21
	v_fma_f16 v117, v72, 0xbacd, -v121
	v_add_f16_e32 v101, v106, v101
	v_add_f16_e32 v106, v109, v108
	v_fma_f16 v108, v26, 0x3b76, -v132
	v_mul_f16_e32 v144, 0xbb29, v81
	v_fmamk_f16 v109, v65, 0xb461, v158
	v_mul_f16_e32 v159, 0x3836, v22
	v_add_f16_e32 v96, v117, v96
	v_add_f16_e32 v106, v108, v106
	v_fma_f16 v108, v4, 0x3722, -v144
	v_mul_f16_e32 v133, 0xb836, v85
	v_add_f16_e32 v109, v62, v109
	v_fmamk_f16 v117, v68, 0xbacd, v159
	v_mul_f16_e32 v160, 0x3964, v14
	v_add_f16_e32 v106, v108, v106
	v_fma_f16 v108, v20, 0xbacd, -v133
	v_mul_f16_e32 v134, 0x3a62, v88
	v_add_f16_e32 v109, v117, v109
	v_fmamk_f16 v117, v69, 0x39e9, v160
	v_mul_f16_e32 v161, 0xbb29, v23
	v_mul_f16_e32 v145, 0x3964, v2
	v_add_f16_e32 v106, v108, v106
	v_fma_f16 v108, v67, 0xb8d2, -v134
	v_add_f16_e32 v109, v117, v109
	v_fmamk_f16 v117, v75, 0x3722, v161
	v_mul_f16_e32 v162, 0xb1e1, v11
	v_mul_f16_e32 v163, 0xbbb2, v89
	v_fmamk_f16 v127, v86, 0x39e9, v145
	v_add_f16_e32 v106, v108, v106
	v_add_f16_e32 v108, v117, v109
	v_fmamk_f16 v109, v76, 0xbbdd, v162
	v_mul_f16_e32 v164, 0x3bf7, v28
	v_fma_f16 v117, v27, 0xb461, -v163
	v_mul_f16_e32 v152, 0x3836, v91
	v_add_f16_e32 v101, v127, v101
	v_add_f16_e32 v108, v109, v108
	v_fmamk_f16 v109, v83, 0x2de8, v164
	v_mul_f16_e32 v150, 0xb5c8, v1
	v_add_f16_e32 v117, v16, v117
	v_fma_f16 v127, v30, 0xbacd, -v152
	v_mul_f16_e32 v153, 0x3964, v79
	v_mul_f16_e32 v146, 0x3964, v90
	v_add_f16_e32 v108, v109, v108
	v_fmamk_f16 v109, v71, 0x3b76, v150
	v_add_f16_e32 v117, v127, v117
	v_fma_f16 v127, v63, 0x39e9, -v153
	v_mul_f16_e32 v154, 0xbb29, v80
	v_mul_f16_e32 v151, 0xba62, v21
	v_fma_f16 v128, v72, 0x39e9, -v146
	v_add_f16_e32 v108, v109, v108
	v_add_f16_e32 v109, v127, v117
	v_fma_f16 v117, v26, 0x3722, -v154
	v_mul_f16_e32 v155, 0xb1e1, v81
	v_fmamk_f16 v127, v65, 0xb8d2, v151
	v_mul_f16_e32 v166, 0x3bb2, v22
	v_add_f16_e32 v106, v128, v106
	v_add_f16_e32 v109, v117, v109
	v_fma_f16 v117, v4, 0xbbdd, -v155
	v_mul_f16_e32 v156, 0x3bf7, v85
	v_add_f16_e32 v127, v62, v127
	v_fmamk_f16 v128, v68, 0xb461, v166
	v_mul_f16_e32 v167, 0xb5c8, v14
	v_add_f16_e32 v109, v117, v109
	v_fma_f16 v117, v20, 0x2de8, -v156
	v_mul_f16_e32 v157, 0xb5c8, v88
	v_add_f16_e32 v127, v128, v127
	v_fmamk_f16 v128, v69, 0x3b76, v167
	v_mul_f16_e32 v168, 0xb836, v23
	v_mul_f16_e32 v165, 0xba62, v2
	v_add_f16_e32 v109, v117, v109
	v_fma_f16 v117, v67, 0x3b76, -v157
	v_add_f16_e32 v127, v128, v127
	v_fmamk_f16 v128, v75, 0xbacd, v168
	v_mul_f16_e32 v169, 0x3bf7, v11
	;; [unrolled: 48-line block ×3, first 2 shown]
	v_mul_f16_e32 v184, 0xb836, v89
	v_fmamk_f16 v147, v86, 0x3722, v178
	v_add_f16_e32 v127, v128, v127
	v_add_f16_e32 v128, v140, v129
	v_fmamk_f16 v129, v76, 0x3b76, v183
	v_mul_f16_e32 v185, 0xb1e1, v28
	v_mul_f16_e32 v186, 0x3b29, v90
	v_fma_f16 v140, v27, 0xbacd, -v184
	v_mul_f16_e32 v187, 0x3b29, v91
	v_add_f16_e32 v117, v147, v117
	v_add_f16_e32 v128, v129, v128
	v_fmamk_f16 v129, v83, 0xbbdd, v185
	v_mul_f16_e32 v188, 0x3964, v1
	v_add_f16_e32 v140, v16, v140
	v_fma_f16 v147, v30, 0x3722, -v187
	v_mul_f16_e32 v189, 0xbbf7, v79
	v_fma_f16 v190, v72, 0x3722, -v186
	v_add_f16_e32 v128, v129, v128
	v_fmamk_f16 v129, v71, 0x39e9, v188
	v_add_f16_e32 v140, v147, v140
	v_fma_f16 v147, v63, 0x2de8, -v189
	v_mul_f16_e32 v191, 0x3a62, v80
	v_add_f16_e32 v127, v190, v127
	v_mul_f16_e32 v190, 0xb1e1, v21
	v_add_f16_e32 v128, v129, v128
	v_add_f16_e32 v129, v147, v140
	v_fma_f16 v140, v26, 0xb8d2, -v191
	v_mul_f16_e32 v192, 0xb5c8, v81
	v_fmamk_f16 v147, v65, 0xbbdd, v190
	v_mul_f16_e32 v194, 0x35c8, v22
	v_mul_f16_e32 v195, 0xb1e1, v85
	v_add_f16_e32 v129, v140, v129
	v_fma_f16 v140, v4, 0x3b76, -v192
	v_add_f16_e32 v147, v62, v147
	v_fmamk_f16 v196, v68, 0x3b76, v194
	v_mul_f16_e32 v197, 0xb836, v14
	v_fma_f16 v148, v65, 0xbacd, -v148
	v_add_f16_e32 v129, v140, v129
	v_fma_f16 v140, v20, 0xbbdd, -v195
	v_mul_f16_e32 v198, 0x3964, v88
	v_add_f16_e32 v147, v196, v147
	v_fmamk_f16 v196, v69, 0xbacd, v197
	v_mul_f16_e32 v199, 0x3964, v23
	v_add_f16_e32 v148, v62, v148
	v_fma_f16 v149, v68, 0x3722, -v149
	v_add_f16_e32 v129, v140, v129
	v_fma_f16 v140, v67, 0x39e9, -v198
	v_add_f16_e32 v147, v196, v147
	v_fmamk_f16 v196, v75, 0x39e9, v199
	v_mul_f16_e32 v201, 0xba62, v11
	v_add_f16_e32 v149, v149, v148
	v_fma_f16 v180, v69, 0x2de8, -v180
	v_fma_f16 v78, v65, 0x39e9, -v78
	v_add_f16_e32 v129, v140, v129
	v_add_f16_e32 v140, v196, v147
	v_fmamk_f16 v147, v76, 0xb8d2, v201
	v_mul_f16_e32 v196, 0x3b29, v28
	v_add_f16_e32 v149, v180, v149
	v_fma_f16 v180, v75, 0xb8d2, -v182
	v_add_f16_e32 v78, v62, v78
	v_fma_f16 v82, v68, 0x2de8, -v82
	v_add_f16_e32 v140, v147, v140
	v_fmamk_f16 v147, v83, 0x3722, v196
	v_mul_f16_e32 v205, 0xbbb2, v1
	v_fmac_f16_e32 v184, 0xbacd, v27
	v_add_f16_e32 v149, v180, v149
	v_fma_f16 v180, v76, 0x3b76, -v183
	v_add_f16_e32 v78, v82, v78
	v_fma_f16 v82, v69, 0xb8d2, -v84
	v_mul_f16_e32 v193, 0xbbb2, v2
	v_fma_f16 v158, v65, 0xb461, -v158
	v_add_f16_e32 v140, v147, v140
	v_fmamk_f16 v147, v71, 0xb461, v205
	v_add_f16_e32 v184, v16, v184
	v_fmac_f16_e32 v187, 0x3722, v30
	v_add_f16_e32 v149, v180, v149
	v_fma_f16 v180, v83, 0xbbdd, -v185
	v_add_f16_e32 v78, v82, v78
	v_fma_f16 v82, v75, 0xbbdd, -v94
	v_fmac_f16_e32 v103, 0x39e9, v27
	v_fmamk_f16 v200, v86, 0xb461, v193
	v_add_f16_e32 v158, v62, v158
	v_fma_f16 v159, v68, 0xbacd, -v159
	v_add_f16_e32 v140, v147, v140
	v_fma_f16 v147, v65, 0xbbdd, -v190
	v_add_f16_e32 v183, v187, v184
	v_add_f16_e32 v180, v180, v149
	v_fma_f16 v184, v71, 0x39e9, -v188
	v_fma_f16 v151, v65, 0xb8d2, -v151
	;; [unrolled: 1-line block ×4, first 2 shown]
	v_add_f16_e32 v78, v82, v78
	v_fma_f16 v82, v76, 0xbacd, -v92
	v_add_f16_e32 v92, v16, v103
	v_fmac_f16_e32 v97, 0x2de8, v30
	v_mul_f16_e32 v65, 0x3b76, v65
	v_add_f16_e32 v128, v200, v128
	v_mul_f16_e32 v200, 0xb1e1, v89
	v_add_f16_e32 v158, v159, v158
	v_fma_f16 v159, v69, 0x39e9, -v160
	v_add_f16_e32 v147, v62, v147
	v_fma_f16 v194, v68, 0x3b76, -v194
	v_add_f16_e32 v180, v184, v180
	v_add_f16_e32 v184, v62, v151
	v_fma_f16 v166, v68, 0xb461, -v166
	v_add_f16_e32 v135, v62, v135
	v_fma_f16 v136, v68, 0xbbdd, -v136
	v_fma_f16 v119, v68, 0xb8d2, -v119
	v_add_f16_e32 v78, v82, v78
	v_fma_f16 v82, v83, 0xb461, -v95
	v_add_f16_e32 v92, v97, v92
	v_fmac_f16_e32 v98, 0xb8d2, v63
	v_fmamk_f16 v95, v21, 0x35c8, v65
	v_mul_f16_e32 v68, 0x39e9, v68
	v_fma_f16 v203, v27, 0xbbdd, -v200
	v_mul_f16_e32 v204, 0x35c8, v91
	v_add_f16_e32 v158, v159, v158
	v_fma_f16 v159, v75, 0x3722, -v161
	v_fmac_f16_e32 v163, 0xb461, v27
	v_add_f16_e32 v147, v194, v147
	v_fma_f16 v194, v69, 0xbacd, -v197
	v_add_f16_e32 v166, v166, v184
	v_fma_f16 v167, v69, 0x3b76, -v167
	;; [unrolled: 2-line block ×3, first 2 shown]
	v_fma_f16 v113, v69, 0xbbdd, -v113
	v_add_f16_e32 v78, v82, v78
	v_add_f16_e32 v82, v98, v92
	;; [unrolled: 1-line block ×3, first 2 shown]
	v_fmamk_f16 v95, v22, 0x3964, v68
	v_mul_f16_e32 v69, 0x3722, v69
	v_add_f16_e32 v203, v16, v203
	v_fma_f16 v206, v30, 0x3b76, -v204
	v_mul_f16_e32 v207, 0xb836, v79
	v_add_f16_e32 v158, v159, v158
	v_fma_f16 v159, v76, 0xbbdd, -v162
	v_add_f16_e32 v162, v16, v163
	v_fmac_f16_e32 v152, 0xbacd, v30
	v_add_f16_e32 v147, v194, v147
	v_fma_f16 v194, v75, 0x39e9, -v199
	v_add_f16_e32 v166, v167, v166
	v_fma_f16 v167, v75, 0xbacd, -v168
	v_add_f16_e32 v135, v136, v135
	v_fma_f16 v130, v75, 0x3b76, -v130
	v_fma_f16 v114, v75, 0xb461, -v114
	v_fma_f16 v93, v71, 0x3722, -v93
	v_add_f16_e32 v92, v95, v92
	v_fmamk_f16 v95, v14, 0x3b29, v69
	v_mul_f16_e32 v75, 0x2de8, v75
	v_add_f16_e32 v203, v206, v203
	v_fma_f16 v206, v63, 0xbacd, -v207
	v_mul_f16_e32 v209, 0x3964, v80
	v_add_f16_e32 v39, v16, v39
	v_add_f16_e32 v40, v40, v62
	;; [unrolled: 1-line block ×3, first 2 shown]
	v_fmac_f16_e32 v153, 0x39e9, v63
	v_add_f16_e32 v147, v194, v147
	v_fma_f16 v194, v76, 0xb8d2, -v201
	v_add_f16_e32 v166, v167, v166
	v_fma_f16 v167, v76, 0x2de8, -v169
	;; [unrolled: 2-line block ×3, first 2 shown]
	v_fma_f16 v112, v76, 0x39e9, -v112
	v_add_f16_e32 v78, v93, v78
	v_add_f16_e32 v92, v95, v92
	v_fmamk_f16 v93, v23, 0x3bf7, v75
	v_mul_f16_e32 v76, 0xb461, v76
	v_add_f16_e32 v190, v206, v203
	v_fma_f16 v203, v26, 0x39e9, -v209
	v_mul_f16_e32 v206, 0xba62, v81
	v_add_f16_e32 v25, v25, v39
	v_add_f16_e32 v38, v38, v40
	;; [unrolled: 1-line block ×3, first 2 shown]
	v_fmac_f16_e32 v154, 0x3722, v26
	v_fma_f16 v196, v83, 0x3722, -v196
	v_add_f16_e32 v166, v167, v166
	v_fma_f16 v167, v83, 0x39e9, -v171
	v_add_f16_e32 v158, v159, v158
	;; [unrolled: 2-line block ×3, first 2 shown]
	v_fma_f16 v131, v83, 0xbacd, -v137
	v_fma_f16 v110, v83, 0x3b76, -v110
	v_add_f16_e32 v92, v93, v92
	v_fmamk_f16 v93, v11, 0x3bb2, v76
	v_mul_f16_e32 v83, 0xb8d2, v83
	v_mul_f16_e32 v89, 0xb5c8, v89
	v_add_f16_e32 v190, v203, v190
	v_fma_f16 v203, v4, 0xb8d2, -v206
	v_mul_f16_e32 v210, 0x3b29, v85
	v_add_f16_e32 v25, v35, v25
	v_add_f16_e32 v35, v36, v38
	;; [unrolled: 1-line block ×3, first 2 shown]
	v_fmac_f16_e32 v155, 0xbbdd, v4
	v_fmac_f16_e32 v141, 0x2de8, v27
	v_fma_f16 v95, v86, 0x3b76, -v99
	v_add_f16_e32 v92, v93, v92
	v_fmamk_f16 v93, v28, 0x3a62, v83
	v_fmamk_f16 v97, v27, 0x3b76, v89
	v_mul_f16_e32 v91, 0xb964, v91
	v_add_f16_e32 v190, v203, v190
	v_fma_f16 v197, v20, 0x3722, -v210
	v_mul_f16_e32 v203, 0xbbb2, v88
	v_add_f16_e32 v25, v37, v25
	v_add_f16_e32 v34, v34, v35
	;; [unrolled: 1-line block ×3, first 2 shown]
	v_fmac_f16_e32 v156, 0x2de8, v20
	v_add_f16_e32 v139, v16, v141
	v_fmac_f16_e32 v142, 0xbbdd, v30
	v_add_f16_e32 v78, v95, v78
	v_add_f16_e32 v92, v93, v92
	;; [unrolled: 1-line block ×3, first 2 shown]
	v_fmamk_f16 v95, v30, 0x39e9, v91
	v_mul_f16_e32 v79, 0xbb29, v79
	v_add_f16_e32 v190, v197, v190
	v_fma_f16 v197, v67, 0xb461, -v203
	v_mul_f16_e32 v199, 0x3bf7, v90
	v_fmac_f16_e32 v200, 0xbbdd, v27
	v_add_f16_e32 v25, v31, v25
	v_add_f16_e32 v31, v32, v34
	;; [unrolled: 1-line block ×4, first 2 shown]
	v_fmac_f16_e32 v143, 0xb461, v63
	v_add_f16_e32 v93, v95, v93
	v_fmamk_f16 v39, v63, 0x3722, v79
	v_mul_f16_e32 v40, 0xbbf7, v80
	v_add_f16_e32 v190, v197, v190
	v_fma_f16 v197, v72, 0x2de8, -v199
	v_add_f16_e32 v200, v16, v200
	v_fmac_f16_e32 v204, 0x3b76, v30
	v_add_f16_e32 v25, v33, v25
	v_add_f16_e32 v31, v42, v31
	;; [unrolled: 1-line block ×3, first 2 shown]
	v_fmac_f16_e32 v132, 0x3b76, v26
	v_add_f16_e32 v36, v39, v93
	v_fmamk_f16 v38, v26, 0x2de8, v40
	v_mul_f16_e32 v39, 0xbbb2, v81
	v_add_f16_e32 v194, v194, v147
	v_add_f16_e32 v147, v197, v190
	;; [unrolled: 1-line block ×3, first 2 shown]
	v_fmac_f16_e32 v207, 0xbacd, v63
	v_add_f16_e32 v25, v41, v25
	v_add_f16_e32 v31, v64, v31
	;; [unrolled: 1-line block ×3, first 2 shown]
	v_fmac_f16_e32 v144, 0x3722, v4
	v_add_f16_e32 v36, v38, v36
	v_fmamk_f16 v37, v4, 0xb461, v39
	v_mul_f16_e32 v32, 0xba62, v85
	v_add_f16_e32 v190, v207, v190
	v_fmac_f16_e32 v209, 0x39e9, v26
	v_add_f16_e32 v25, v70, v25
	v_add_f16_e32 v31, v77, v31
	;; [unrolled: 1-line block ×4, first 2 shown]
	v_fmac_f16_e32 v133, 0xbacd, v20
	v_fmac_f16_e32 v124, 0x3722, v27
	;; [unrolled: 1-line block ×3, first 2 shown]
	v_add_f16_e32 v36, v37, v36
	v_fmamk_f16 v33, v20, 0xb8d2, v32
	v_mul_f16_e32 v37, 0xb836, v88
	v_add_f16_e32 v190, v209, v190
	v_fmac_f16_e32 v206, 0xb8d2, v4
	v_add_f16_e32 v25, v66, v25
	v_add_f16_e32 v31, v74, v31
	v_add_f16_e32 v118, v119, v118
	v_add_f16_e32 v119, v133, v132
	v_fmac_f16_e32 v134, 0xb8d2, v67
	v_add_f16_e32 v124, v16, v124
	v_fmac_f16_e32 v125, 0xb8d2, v30
	v_add_f16_e32 v170, v16, v170
	;; [unrolled: 2-line block ×3, first 2 shown]
	v_fmamk_f16 v36, v67, 0xbacd, v37
	v_fmac_f16_e32 v65, 0xb5c8, v21
	v_fma_f16 v27, v27, 0x3b76, -v89
	v_add_f16_e32 v182, v206, v190
	v_fmac_f16_e32 v210, 0x3722, v20
	v_add_f16_e32 v25, v29, v25
	v_add_f16_e32 v5, v5, v31
	v_add_f16_e32 v113, v113, v118
	v_add_f16_e32 v118, v134, v119
	v_add_f16_e32 v119, v125, v124
	v_fmac_f16_e32 v115, 0xbbdd, v63
	v_add_f16_e32 v170, v173, v170
	v_fmac_f16_e32 v175, 0x3b76, v63
	v_add_f16_e32 v21, v36, v33
	v_add_f16_e32 v36, v62, v65
	v_fmac_f16_e32 v68, 0xb964, v22
	v_fmac_f16_e32 v69, 0xbb29, v14
	v_add_f16_e32 v14, v16, v27
	v_fma_f16 v16, v30, 0x39e9, -v91
	v_add_f16_e32 v182, v210, v182
	v_fmac_f16_e32 v203, 0xb461, v67
	v_fmac_f16_e32 v189, 0x2de8, v63
	v_add_f16_e32 v0, v0, v25
	v_add_f16_e32 v5, v6, v5
	v_fmac_f16_e32 v100, 0xbbdd, v26
	v_add_f16_e32 v113, v114, v113
	v_add_f16_e32 v115, v115, v119
	v_fmac_f16_e32 v116, 0xb461, v26
	v_add_f16_e32 v169, v175, v170
	v_fmac_f16_e32 v176, 0xbacd, v26
	v_add_f16_e32 v29, v68, v36
	v_add_f16_e32 v14, v16, v14
	v_fma_f16 v16, v63, 0x3722, -v79
	v_add_f16_e32 v182, v203, v182
	v_fmac_f16_e32 v199, 0x2de8, v72
	v_add_f16_e32 v183, v189, v183
	v_fmac_f16_e32 v191, 0xb8d2, v26
	v_add_f16_e32 v0, v13, v0
	v_add_f16_e32 v5, v7, v5
	;; [unrolled: 1-line block ×3, first 2 shown]
	v_fmac_f16_e32 v102, 0xbacd, v4
	v_add_f16_e32 v112, v112, v113
	v_add_f16_e32 v113, v116, v115
	v_fmac_f16_e32 v123, 0x39e9, v4
	v_add_f16_e32 v169, v176, v169
	v_fmac_f16_e32 v177, 0x2de8, v4
	;; [unrolled: 2-line block ×3, first 2 shown]
	v_fmac_f16_e32 v76, 0xbbb2, v11
	v_add_f16_e32 v7, v16, v14
	v_fma_f16 v11, v26, 0x2de8, -v40
	v_mul_f16_e32 v202, 0xbbb2, v90
	v_add_f16_e32 v149, v199, v182
	v_add_f16_e32 v182, v191, v183
	v_fmac_f16_e32 v192, 0x3b76, v4
	v_add_f16_e32 v0, v10, v0
	v_add_f16_e32 v5, v12, v5
	;; [unrolled: 1-line block ×3, first 2 shown]
	v_fma_f16 v196, v71, 0xb461, -v205
	v_add_f16_e32 v166, v167, v166
	v_fma_f16 v167, v71, 0xbbdd, -v174
	v_fma_f16 v150, v71, 0x3b76, -v150
	v_add_f16_e32 v130, v131, v130
	v_fma_f16 v131, v71, 0xb8d2, -v138
	v_fma_f16 v111, v71, 0x2de8, -v111
	v_add_f16_e32 v82, v102, v82
	v_fmac_f16_e32 v105, 0xb461, v20
	v_mul_f16_e32 v71, 0xbacd, v71
	v_add_f16_e32 v84, v123, v113
	v_fmac_f16_e32 v126, 0x3b76, v20
	v_add_f16_e32 v160, v177, v169
	v_fmac_f16_e32 v179, 0x39e9, v20
	v_add_f16_e32 v6, v75, v6
	v_add_f16_e32 v7, v11, v7
	v_fma_f16 v4, v4, 0xb461, -v39
	v_fma_f16 v208, v72, 0xb461, -v202
	;; [unrolled: 1-line block ×3, first 2 shown]
	v_add_f16_e32 v182, v192, v182
	v_fmac_f16_e32 v195, 0xbbdd, v20
	v_add_f16_e32 v0, v19, v0
	v_add_f16_e32 v5, v9, v5
	;; [unrolled: 1-line block ×3, first 2 shown]
	v_fmac_f16_e32 v104, 0x3722, v67
	v_fmamk_f16 v80, v1, 0x3836, v71
	v_mul_f16_e32 v34, 0xbbdd, v86
	v_mul_f16_e32 v33, 0xb1e1, v90
	v_add_f16_e32 v110, v110, v112
	v_add_f16_e32 v84, v126, v84
	v_fmac_f16_e32 v120, 0x2de8, v67
	v_add_f16_e32 v160, v179, v160
	v_fmac_f16_e32 v181, 0xbbdd, v67
	;; [unrolled: 2-line block ×4, first 2 shown]
	v_fmac_f16_e32 v71, 0xb836, v1
	v_add_f16_e32 v1, v4, v7
	v_fma_f16 v4, v20, 0xb8d2, -v32
	v_add_f16_e32 v129, v208, v129
	v_mul_f16_e32 v208, 0x3bf7, v2
	v_add_f16_e32 v151, v183, v180
	v_add_f16_e32 v180, v195, v182
	v_fmac_f16_e32 v198, 0x39e9, v67
	v_add_f16_e32 v0, v18, v0
	v_add_f16_e32 v5, v8, v5
	;; [unrolled: 1-line block ×3, first 2 shown]
	v_fmac_f16_e32 v107, 0x3b76, v72
	v_add_f16_e32 v35, v80, v92
	v_fmamk_f16 v38, v2, 0x31e1, v34
	v_fmamk_f16 v22, v72, 0xbbdd, v33
	v_add_f16_e32 v130, v131, v130
	v_fma_f16 v131, v86, 0x39e9, -v145
	v_fmac_f16_e32 v146, 0x39e9, v72
	v_add_f16_e32 v110, v111, v110
	v_fma_f16 v111, v86, 0xbacd, -v122
	v_add_f16_e32 v84, v120, v84
	v_fmac_f16_e32 v121, 0xbacd, v72
	v_add_f16_e32 v166, v167, v166
	v_fma_f16 v167, v86, 0x3722, -v178
	v_add_f16_e32 v160, v181, v160
	;; [unrolled: 4-line block ×3, first 2 shown]
	v_fmac_f16_e32 v172, 0xb8d2, v72
	v_add_f16_e32 v6, v83, v6
	v_fmac_f16_e32 v34, 0xb1e1, v2
	v_add_f16_e32 v1, v4, v1
	v_fma_f16 v2, v67, 0xbacd, -v37
	v_add_f16_e32 v194, v196, v194
	v_fma_f16 v196, v86, 0x2de8, -v208
	v_add_f16_e32 v168, v198, v180
	v_fmac_f16_e32 v202, 0xb461, v72
	v_add_f16_e32 v0, v17, v0
	v_add_f16_e32 v4, v15, v5
	v_fmamk_f16 v211, v86, 0x2de8, v208
	v_add_f16_e32 v82, v107, v82
	v_add_f16_e32 v35, v38, v35
	;; [unrolled: 1-line block ×13, first 2 shown]
	v_fma_f16 v2, v72, 0xbbdd, -v33
	v_add_f16_e32 v148, v196, v194
	v_add_f16_e32 v168, v202, v168
	v_pack_b32_f16 v0, v0, v4
	v_add_f16_e32 v140, v211, v140
	v_lshl_add_u32 v4, v58, 2, v61
	v_pack_b32_f16 v5, v5, v35
	v_pack_b32_f16 v7, v82, v78
	;; [unrolled: 1-line block ×6, first 2 shown]
	v_add_f16_e32 v6, v34, v6
	v_add_f16_e32 v1, v2, v1
	ds_write_b32 v45, v0
	ds_write2_b32 v4, v5, v7 offset0:16 offset1:32
	ds_write2_b32 v4, v8, v9 offset0:48 offset1:64
	;; [unrolled: 1-line block ×3, first 2 shown]
	v_pack_b32_f16 v0, v168, v151
	v_pack_b32_f16 v2, v149, v148
	;; [unrolled: 1-line block ×10, first 2 shown]
	v_add_nc_u32_e32 v6, 0x200, v4
	ds_write2_b32 v4, v0, v2 offset0:112 offset1:128
	ds_write2_b32 v4, v5, v7 offset0:144 offset1:160
	;; [unrolled: 1-line block ×5, first 2 shown]
.LBB0_9:
	s_or_b32 exec_lo, exec_lo, s0
	s_waitcnt lgkmcnt(0)
	s_barrier
	buffer_gl0_inv
	ds_read2_b32 v[0:1], v45 offset1:17
	ds_read2_b32 v[2:3], v45 offset0:34 offset1:51
	s_mov_b32 s6, 0x1e1e1e1e
	s_mov_b32 s7, 0x3f6e1e1e
	s_waitcnt lgkmcnt(1)
	v_lshrrev_b32_e32 v4, 16, v0
	v_mul_f16_sdwa v5, v59, v0 dst_sel:DWORD dst_unused:UNUSED_PAD src0_sel:WORD_1 src1_sel:DWORD
	v_lshrrev_b32_e32 v6, 16, v1
	v_mul_f16_sdwa v7, v60, v1 dst_sel:DWORD dst_unused:UNUSED_PAD src0_sel:WORD_1 src1_sel:DWORD
	s_waitcnt lgkmcnt(0)
	v_lshrrev_b32_e32 v19, 16, v2
	v_mul_f16_sdwa v8, v59, v4 dst_sel:DWORD dst_unused:UNUSED_PAD src0_sel:WORD_1 src1_sel:DWORD
	v_fma_f16 v4, v59, v4, -v5
	v_mul_f16_sdwa v10, v60, v6 dst_sel:DWORD dst_unused:UNUSED_PAD src0_sel:WORD_1 src1_sel:DWORD
	v_fma_f16 v5, v60, v6, -v7
	v_mul_f16_sdwa v14, v57, v19 dst_sel:DWORD dst_unused:UNUSED_PAD src0_sel:WORD_1 src1_sel:DWORD
	v_fmac_f16_e32 v8, v59, v0
	v_cvt_f32_f16_e32 v0, v4
	v_fmac_f16_e32 v10, v60, v1
	v_cvt_f32_f16_e32 v9, v5
	v_mad_u64_u32 v[6:7], null, s10, v24, 0
	v_cvt_f64_f32_e32 v[4:5], v0
	v_cvt_f32_f16_e32 v11, v8
	v_cvt_f64_f32_e32 v[8:9], v9
	v_cvt_f32_f16_e32 v12, v10
	v_fmac_f16_e32 v14, v57, v2
	v_mul_f16_sdwa v2, v57, v2 dst_sel:DWORD dst_unused:UNUSED_PAD src0_sel:WORD_1 src1_sel:DWORD
	v_cvt_f64_f32_e32 v[0:1], v11
	v_mad_u64_u32 v[10:11], null, s8, v58, 0
	v_cvt_f64_f32_e32 v[12:13], v12
	v_cvt_f32_f16_e32 v16, v14
	v_fma_f16 v2, v57, v19, -v2
	v_cvt_f32_f16_e32 v2, v2
	v_mul_f64 v[4:5], v[4:5], s[6:7]
	v_mad_u64_u32 v[14:15], null, s11, v24, v[7:8]
	v_mul_f64 v[8:9], v[8:9], s[6:7]
	v_cvt_f64_f32_e32 v[15:16], v16
	v_mul_f64 v[0:1], v[0:1], s[6:7]
	v_mad_u64_u32 v[17:18], null, s9, v58, v[11:12]
	v_mov_b32_e32 v7, v14
	v_mul_f64 v[12:13], v[12:13], s[6:7]
	v_lshlrev_b64 v[6:7], 2, v[6:7]
	v_mov_b32_e32 v11, v17
	v_and_or_b32 v4, 0x1ff, v5, v4
	v_add_co_u32 v14, vcc_lo, s4, v6
	v_add_co_ci_u32_e32 v17, vcc_lo, s5, v7, vcc_lo
	v_and_or_b32 v8, 0x1ff, v9, v8
	v_cmp_ne_u32_e32 vcc_lo, 0, v4
	v_and_or_b32 v0, 0x1ff, v1, v0
	v_mul_f64 v[6:7], v[15:16], s[6:7]
	v_lshrrev_b32_e32 v15, 8, v5
	v_bfe_u32 v16, v5, 20, 11
	v_cndmask_b32_e64 v4, 0, 1, vcc_lo
	v_cmp_ne_u32_e32 vcc_lo, 0, v8
	v_bfe_u32 v20, v9, 20, 11
	v_and_or_b32 v12, 0x1ff, v13, v12
	v_lshrrev_b32_e32 v18, 8, v9
	v_lshrrev_b32_e32 v21, 8, v1
	v_cndmask_b32_e64 v8, 0, 1, vcc_lo
	v_cmp_ne_u32_e32 vcc_lo, 0, v0
	v_bfe_u32 v22, v1, 20, 11
	v_sub_nc_u32_e32 v23, 0x3f1, v16
	v_sub_nc_u32_e32 v26, 0x3f1, v20
	v_and_or_b32 v4, 0xffe, v15, v4
	v_cndmask_b32_e64 v0, 0, 1, vcc_lo
	v_cmp_ne_u32_e32 vcc_lo, 0, v12
	v_lshrrev_b32_e32 v24, 8, v13
	v_sub_nc_u32_e32 v27, 0x3f1, v22
	v_med3_i32 v15, v23, 0, 13
	v_and_or_b32 v8, 0xffe, v18, v8
	v_cndmask_b32_e64 v12, 0, 1, vcc_lo
	v_med3_i32 v18, v26, 0, 13
	v_and_or_b32 v0, 0xffe, v21, v0
	v_or_b32_e32 v26, 0x1000, v4
	v_add_nc_u32_e32 v16, 0xfffffc10, v16
	v_bfe_u32 v25, v13, 20, 11
	v_med3_i32 v21, v27, 0, 13
	v_cmp_ne_u32_e32 vcc_lo, 0, v4
	v_and_or_b32 v12, 0xffe, v24, v12
	v_or_b32_e32 v24, 0x1000, v0
	v_lshrrev_b32_e32 v30, v15, v26
	v_add_nc_u32_e32 v22, 0xfffffc10, v22
	v_sub_nc_u32_e32 v23, 0x3f1, v25
	v_lshl_or_b32 v27, v16, 12, v4
	v_cndmask_b32_e64 v4, 0, 1, vcc_lo
	v_lshrrev_b32_e32 v31, v21, v24
	v_cmp_ne_u32_e32 vcc_lo, 0, v0
	v_lshlrev_b32_e32 v15, v15, v30
	v_med3_i32 v23, v23, 0, 13
	v_lshl_or_b32 v29, v22, 12, v0
	v_or_b32_e32 v32, 0x1000, v12
	v_cndmask_b32_e64 v0, 0, 1, vcc_lo
	v_lshlrev_b32_e32 v21, v21, v31
	v_cmp_ne_u32_e32 vcc_lo, v15, v26
	v_add_nc_u32_e32 v25, 0xfffffc10, v25
	v_lshrrev_b32_e32 v34, v23, v32
	v_or_b32_e32 v28, 0x1000, v8
	v_lshl_or_b32 v0, v0, 9, 0x7c00
	v_cndmask_b32_e64 v15, 0, 1, vcc_lo
	v_cmp_ne_u32_e32 vcc_lo, v21, v24
	v_lshlrev_b32_e32 v23, v23, v34
	v_lshl_or_b32 v33, v25, 12, v12
	v_lshrrev_b32_e32 v24, v18, v28
	v_or_b32_e32 v15, v30, v15
	v_cndmask_b32_e64 v21, 0, 1, vcc_lo
	v_cmp_ne_u32_e32 vcc_lo, 0, v12
	v_cmp_gt_i32_e64 s3, 1, v25
	v_lshlrev_b32_e32 v18, v18, v24
	v_lshl_or_b32 v4, v4, 9, 0x7c00
	v_or_b32_e32 v21, v31, v21
	v_cndmask_b32_e64 v12, 0, 1, vcc_lo
	v_cmp_ne_u32_e32 vcc_lo, v23, v32
	v_lshrrev_b32_e32 v1, 16, v1
	v_lshrrev_b32_e32 v5, 16, v5
	v_add_nc_u32_e32 v20, 0xfffffc10, v20
	v_lshrrev_b32_e32 v13, 16, v13
	v_cndmask_b32_e64 v23, 0, 1, vcc_lo
	v_cmp_gt_i32_e32 vcc_lo, 1, v22
	v_lshrrev_b32_e32 v9, 16, v9
	v_or_b32_e32 v23, v34, v23
	v_cndmask_b32_e32 v21, v29, v21, vcc_lo
	v_cmp_gt_i32_e32 vcc_lo, 1, v16
	v_cndmask_b32_e64 v23, v33, v23, s3
	v_and_b32_e32 v26, 7, v21
	v_cndmask_b32_e32 v15, v27, v15, vcc_lo
	v_lshrrev_b32_e32 v21, 2, v21
	s_mul_i32 s3, s8, 0x44
	v_cmp_lt_i32_e32 vcc_lo, 5, v26
	v_and_b32_e32 v27, 7, v15
	v_cmp_eq_u32_e64 s0, 3, v26
	v_lshrrev_b32_e32 v15, 2, v15
	v_and_b32_e32 v26, 7, v23
	v_cmp_lt_i32_e64 s1, 5, v27
	v_cmp_eq_u32_e64 s2, 3, v27
	s_or_b32 vcc_lo, s0, vcc_lo
	v_cmp_eq_u32_e64 s0, 3, v26
	v_add_co_ci_u32_e32 v21, vcc_lo, 0, v21, vcc_lo
	s_or_b32 vcc_lo, s2, s1
	s_mul_hi_u32 s2, s8, 0x44
	v_add_co_ci_u32_e32 v15, vcc_lo, 0, v15, vcc_lo
	v_cmp_gt_i32_e32 vcc_lo, 31, v22
	v_cndmask_b32_e32 v21, 0x7c00, v21, vcc_lo
	v_cmp_gt_i32_e32 vcc_lo, 31, v16
	v_cndmask_b32_e32 v15, 0x7c00, v15, vcc_lo
	v_cmp_eq_u32_e32 vcc_lo, 0x40f, v22
	v_cndmask_b32_e32 v0, v21, v0, vcc_lo
	v_cmp_ne_u32_e32 vcc_lo, v18, v28
	v_and_or_b32 v0, 0x8000, v1, v0
	v_cndmask_b32_e64 v18, 0, 1, vcc_lo
	v_cmp_eq_u32_e32 vcc_lo, 0x40f, v16
	v_lshrrev_b32_e32 v1, 2, v23
	v_and_b32_e32 v0, 0xffff, v0
	v_cndmask_b32_e32 v4, v15, v4, vcc_lo
	v_cmp_lt_i32_e32 vcc_lo, 5, v26
	v_and_or_b32 v4, 0x8000, v5, v4
	s_or_b32 vcc_lo, s0, vcc_lo
	v_or_b32_e32 v5, v24, v18
	v_add_co_ci_u32_e32 v1, vcc_lo, 0, v1, vcc_lo
	v_cmp_gt_i32_e32 vcc_lo, 31, v25
	v_lshl_or_b32 v15, v4, 16, v0
	v_lshl_or_b32 v0, v20, 12, v8
	;; [unrolled: 1-line block ×3, first 2 shown]
	v_cndmask_b32_e32 v1, 0x7c00, v1, vcc_lo
	v_cmp_gt_i32_e32 vcc_lo, 1, v20
	v_cndmask_b32_e32 v12, v0, v5, vcc_lo
	v_cmp_eq_u32_e32 vcc_lo, 0x40f, v25
	v_and_b32_e32 v18, 7, v12
	v_cndmask_b32_e32 v16, v1, v4, vcc_lo
	v_cvt_f64_f32_e32 v[4:5], v2
	v_and_or_b32 v2, 0x1ff, v7, v6
	v_lshlrev_b64 v[0:1], 2, v[10:11]
	v_cmp_lt_i32_e32 vcc_lo, 5, v18
	v_cmp_eq_u32_e64 s0, 3, v18
	v_lshrrev_b32_e32 v10, 2, v12
	v_cmp_ne_u32_e64 s1, 0, v2
	v_lshrrev_b32_e32 v11, 8, v7
	v_bfe_u32 v12, v7, 20, 11
	s_or_b32 vcc_lo, s0, vcc_lo
	v_and_or_b32 v6, 0x8000, v13, v16
	v_add_co_ci_u32_e32 v10, vcc_lo, 0, v10, vcc_lo
	v_cndmask_b32_e64 v2, 0, 1, s1
	v_cmp_ne_u32_e32 vcc_lo, 0, v8
	v_lshrrev_b32_e32 v16, 16, v3
	v_and_b32_e32 v6, 0xffff, v6
	s_mul_i32 s0, s9, 0x44
	v_and_or_b32 v11, 0xffe, v11, v2
	v_cndmask_b32_e64 v8, 0, 1, vcc_lo
	v_sub_nc_u32_e32 v2, 0x3f1, v12
	v_cmp_gt_i32_e32 vcc_lo, 31, v20
	v_mul_f64 v[4:5], v[4:5], s[6:7]
	v_or_b32_e32 v13, 0x1000, v11
	v_lshl_or_b32 v8, v8, 9, 0x7c00
	v_med3_i32 v2, v2, 0, 13
	v_cndmask_b32_e32 v10, 0x7c00, v10, vcc_lo
	v_cmp_eq_u32_e32 vcc_lo, 0x40f, v20
	v_mul_f16_sdwa v18, v56, v16 dst_sel:DWORD dst_unused:UNUSED_PAD src0_sel:WORD_1 src1_sel:DWORD
	v_add_nc_u32_e32 v12, 0xfffffc10, v12
	s_add_i32 s2, s2, s0
	v_cndmask_b32_e32 v8, v10, v8, vcc_lo
	v_lshrrev_b32_e32 v10, v2, v13
	v_add_co_u32 v0, vcc_lo, v14, v0
	v_add_co_ci_u32_e32 v1, vcc_lo, v17, v1, vcc_lo
	v_lshlrev_b32_e32 v2, v2, v10
	v_and_or_b32 v8, 0x8000, v9, v8
	v_fmac_f16_e32 v18, v56, v3
	v_mul_f16_sdwa v3, v56, v3 dst_sel:DWORD dst_unused:UNUSED_PAD src0_sel:WORD_1 src1_sel:DWORD
	global_store_dword v[0:1], v15, off
	v_cmp_ne_u32_e32 vcc_lo, v2, v13
	v_and_or_b32 v4, 0x1ff, v5, v4
	v_lshl_or_b32 v14, v8, 16, v6
	v_cvt_f32_f16_e32 v6, v18
	v_bfe_u32 v13, v5, 20, 11
	v_cndmask_b32_e64 v2, 0, 1, vcc_lo
	v_cmp_ne_u32_e32 vcc_lo, 0, v4
	v_fma_f16 v16, v56, v16, -v3
	v_cvt_f64_f32_e32 v[8:9], v6
	v_lshl_or_b32 v6, v12, 12, v11
	v_or_b32_e32 v2, v10, v2
	v_cndmask_b32_e64 v4, 0, 1, vcc_lo
	v_cmp_gt_i32_e32 vcc_lo, 1, v12
	v_lshrrev_b32_e32 v10, 8, v5
	v_add_co_u32 v0, s1, v0, s3
	v_add_co_ci_u32_e64 v1, s1, s2, v1, s1
	v_cndmask_b32_e32 v6, v6, v2, vcc_lo
	v_and_or_b32 v4, 0xffe, v10, v4
	v_sub_nc_u32_e32 v2, 0x3f1, v13
	v_add_nc_u32_e32 v13, 0xfffffc10, v13
	global_store_dword v[0:1], v14, off
	v_and_b32_e32 v10, 7, v6
	v_or_b32_e32 v15, 0x1000, v4
	v_med3_i32 v17, v2, 0, 13
	v_lshrrev_b32_e32 v6, 2, v6
	v_lshrrev_b32_e32 v5, 16, v5
	v_cmp_lt_i32_e32 vcc_lo, 5, v10
	v_cmp_eq_u32_e64 s0, 3, v10
	v_lshrrev_b32_e32 v10, v17, v15
	v_mul_f64 v[2:3], v[8:9], s[6:7]
	v_cvt_f32_f16_e32 v8, v16
	s_or_b32 vcc_lo, s0, vcc_lo
	v_lshlrev_b32_e32 v16, v17, v10
	v_add_co_ci_u32_e32 v6, vcc_lo, 0, v6, vcc_lo
	v_cmp_ne_u32_e32 vcc_lo, 0, v11
	v_cvt_f64_f32_e32 v[8:9], v8
	v_lshl_or_b32 v17, v13, 12, v4
	v_cndmask_b32_e64 v11, 0, 1, vcc_lo
	v_cmp_ne_u32_e32 vcc_lo, v16, v15
	v_lshl_or_b32 v16, v11, 9, 0x7c00
	v_cndmask_b32_e64 v15, 0, 1, vcc_lo
	v_cmp_gt_i32_e32 vcc_lo, 31, v12
	v_and_or_b32 v2, 0x1ff, v3, v2
	v_or_b32_e32 v15, v10, v15
	v_cndmask_b32_e32 v6, 0x7c00, v6, vcc_lo
	v_cmp_eq_u32_e32 vcc_lo, 0x40f, v12
	ds_read2_b32 v[10:11], v45 offset0:68 offset1:85
	v_cndmask_b32_e32 v12, v6, v16, vcc_lo
	v_cmp_gt_i32_e32 vcc_lo, 1, v13
	v_lshrrev_b32_e32 v16, 16, v7
	v_mul_f64 v[6:7], v[8:9], s[6:7]
	v_lshrrev_b32_e32 v8, 8, v3
	v_cndmask_b32_e32 v15, v17, v15, vcc_lo
	v_cmp_ne_u32_e32 vcc_lo, 0, v2
	v_bfe_u32 v17, v3, 20, 11
	v_and_or_b32 v12, 0x8000, v16, v12
	v_and_b32_e32 v9, 7, v15
	v_cndmask_b32_e64 v2, 0, 1, vcc_lo
	v_and_b32_e32 v12, 0xffff, v12
	v_cmp_lt_i32_e32 vcc_lo, 5, v9
	v_cmp_eq_u32_e64 s0, 3, v9
	v_and_or_b32 v2, 0xffe, v8, v2
	v_sub_nc_u32_e32 v8, 0x3f1, v17
	v_lshrrev_b32_e32 v9, 2, v15
	s_waitcnt lgkmcnt(0)
	v_lshrrev_b32_e32 v15, 16, v10
	s_or_b32 vcc_lo, s0, vcc_lo
	v_or_b32_e32 v14, 0x1000, v2
	v_med3_i32 v8, v8, 0, 13
	v_add_co_ci_u32_e32 v9, vcc_lo, 0, v9, vcc_lo
	v_mul_f16_sdwa v16, v55, v15 dst_sel:DWORD dst_unused:UNUSED_PAD src0_sel:WORD_1 src1_sel:DWORD
	v_cmp_ne_u32_e32 vcc_lo, 0, v4
	v_lshrrev_b32_e32 v18, v8, v14
	v_and_or_b32 v6, 0x1ff, v7, v6
	v_bfe_u32 v21, v7, 20, 11
	v_fmac_f16_e32 v16, v55, v10
	v_cndmask_b32_e64 v4, 0, 1, vcc_lo
	v_cmp_gt_i32_e32 vcc_lo, 31, v13
	v_lshlrev_b32_e32 v20, v8, v18
	v_add_nc_u32_e32 v17, 0xfffffc10, v17
	v_cvt_f32_f16_e32 v8, v16
	v_lshrrev_b32_e32 v16, 8, v7
	v_cndmask_b32_e32 v19, 0x7c00, v9, vcc_lo
	v_cmp_ne_u32_e32 vcc_lo, 0, v6
	v_lshl_or_b32 v4, v4, 9, 0x7c00
	v_cvt_f64_f32_e32 v[8:9], v8
	v_mul_f16_sdwa v10, v55, v10 dst_sel:DWORD dst_unused:UNUSED_PAD src0_sel:WORD_1 src1_sel:DWORD
	v_lshrrev_b32_e32 v7, 16, v7
	v_cndmask_b32_e64 v6, 0, 1, vcc_lo
	v_cmp_ne_u32_e32 vcc_lo, v20, v14
	v_fma_f16 v10, v55, v15, -v10
	v_and_or_b32 v6, 0xffe, v16, v6
	v_cndmask_b32_e64 v14, 0, 1, vcc_lo
	v_cmp_eq_u32_e32 vcc_lo, 0x40f, v13
	v_sub_nc_u32_e32 v16, 0x3f1, v21
	v_cvt_f32_f16_e32 v10, v10
	v_or_b32_e32 v13, v18, v14
	v_cndmask_b32_e32 v4, v19, v4, vcc_lo
	v_lshl_or_b32 v14, v17, 12, v2
	v_cmp_gt_i32_e32 vcc_lo, 1, v17
	v_or_b32_e32 v18, 0x1000, v6
	v_med3_i32 v16, v16, 0, 13
	v_and_or_b32 v15, 0x8000, v5, v4
	v_cndmask_b32_e32 v13, v14, v13, vcc_lo
	v_mul_f64 v[4:5], v[8:9], s[6:7]
	v_lshrrev_b32_e32 v14, v16, v18
	v_cvt_f64_f32_e32 v[8:9], v10
	v_lshl_or_b32 v12, v15, 16, v12
	v_and_b32_e32 v19, 7, v13
	v_lshrrev_b32_e32 v13, 2, v13
	v_lshlrev_b32_e32 v16, v16, v14
	v_add_nc_u32_e32 v15, 0xfffffc10, v21
	v_cmp_lt_i32_e32 vcc_lo, 5, v19
	v_cmp_eq_u32_e64 s0, 3, v19
	v_cmp_ne_u32_e64 s1, v16, v18
	s_or_b32 vcc_lo, s0, vcc_lo
	v_cndmask_b32_e64 v10, 0, 1, s1
	v_add_co_ci_u32_e32 v13, vcc_lo, 0, v13, vcc_lo
	v_cmp_ne_u32_e32 vcc_lo, 0, v2
	v_add_co_u32 v0, s1, v0, s3
	v_or_b32_e32 v10, v14, v10
	v_lshl_or_b32 v14, v15, 12, v6
	v_cndmask_b32_e64 v2, 0, 1, vcc_lo
	v_cmp_gt_i32_e32 vcc_lo, 1, v15
	v_and_or_b32 v4, 0x1ff, v5, v4
	v_mul_f64 v[8:9], v[8:9], s[6:7]
	v_lshrrev_b32_e32 v16, 8, v5
	v_lshl_or_b32 v2, v2, 9, 0x7c00
	v_cndmask_b32_e32 v10, v14, v10, vcc_lo
	v_cmp_gt_i32_e32 vcc_lo, 31, v17
	v_bfe_u32 v18, v5, 20, 11
	v_add_co_ci_u32_e64 v1, s1, s2, v1, s1
	v_and_b32_e32 v14, 7, v10
	v_cndmask_b32_e32 v13, 0x7c00, v13, vcc_lo
	v_cmp_ne_u32_e32 vcc_lo, 0, v4
	global_store_dword v[0:1], v12, off
	v_lshrrev_b32_e32 v5, 16, v5
	v_cmp_eq_u32_e64 s0, 3, v14
	v_cndmask_b32_e64 v4, 0, 1, vcc_lo
	v_cmp_eq_u32_e32 vcc_lo, 0x40f, v17
	v_and_or_b32 v4, 0xffe, v16, v4
	v_cndmask_b32_e32 v13, v13, v2, vcc_lo
	v_cmp_lt_i32_e32 vcc_lo, 5, v14
	v_lshrrev_b32_e32 v14, 16, v3
	v_lshrrev_b32_e32 v3, 2, v10
	v_sub_nc_u32_e32 v2, 0x3f1, v18
	v_or_b32_e32 v10, 0x1000, v4
	s_or_b32 vcc_lo, s0, vcc_lo
	v_lshrrev_b32_e32 v16, 16, v11
	v_add_co_ci_u32_e32 v3, vcc_lo, 0, v3, vcc_lo
	v_cmp_ne_u32_e32 vcc_lo, 0, v6
	v_med3_i32 v2, v2, 0, 13
	v_and_or_b32 v8, 0x1ff, v9, v8
	v_mul_f16_sdwa v19, v54, v16 dst_sel:DWORD dst_unused:UNUSED_PAD src0_sel:WORD_1 src1_sel:DWORD
	v_bfe_u32 v21, v9, 20, 11
	v_cndmask_b32_e64 v6, 0, 1, vcc_lo
	v_cmp_gt_i32_e32 vcc_lo, 31, v15
	v_lshrrev_b32_e32 v17, v2, v10
	v_fmac_f16_e32 v19, v54, v11
	v_sub_nc_u32_e32 v22, 0x3f1, v21
	v_lshl_or_b32 v6, v6, 9, 0x7c00
	v_cndmask_b32_e32 v20, 0x7c00, v3, vcc_lo
	v_cmp_ne_u32_e32 vcc_lo, 0, v8
	v_lshlrev_b32_e32 v2, v2, v17
	v_lshrrev_b32_e32 v8, 8, v9
	v_cvt_f32_f16_e32 v19, v19
	v_add_nc_u32_e32 v18, 0xfffffc10, v18
	v_cndmask_b32_e64 v3, 0, 1, vcc_lo
	v_cmp_ne_u32_e32 vcc_lo, v2, v10
	v_med3_i32 v22, v22, 0, 13
	v_mul_f16_sdwa v11, v54, v11 dst_sel:DWORD dst_unused:UNUSED_PAD src0_sel:WORD_1 src1_sel:DWORD
	v_and_or_b32 v13, 0x8000, v14, v13
	v_and_or_b32 v8, 0xffe, v8, v3
	v_cndmask_b32_e64 v10, 0, 1, vcc_lo
	v_cvt_f64_f32_e32 v[2:3], v19
	v_cmp_eq_u32_e32 vcc_lo, 0x40f, v15
	v_lshrrev_b32_e32 v9, 16, v9
	v_or_b32_e32 v19, 0x1000, v8
	v_or_b32_e32 v10, v17, v10
	v_lshl_or_b32 v17, v18, 12, v4
	v_cndmask_b32_e32 v6, v20, v6, vcc_lo
	v_cmp_gt_i32_e32 vcc_lo, 1, v18
	v_lshrrev_b32_e32 v15, v22, v19
	v_and_or_b32 v20, 0x8000, v7, v6
	v_cndmask_b32_e32 v10, v17, v10, vcc_lo
	v_lshlrev_b32_e32 v17, v22, v15
	v_fma_f16 v6, v54, v16, -v11
	v_and_b32_e32 v11, 0xffff, v13
	v_add_nc_u32_e32 v16, 0xfffffc10, v21
	v_and_b32_e32 v14, 7, v10
	v_cmp_ne_u32_e64 s0, v17, v19
	v_cvt_f32_f16_e32 v6, v6
	v_lshrrev_b32_e32 v10, 2, v10
	v_cmp_lt_i32_e32 vcc_lo, 5, v14
	v_cndmask_b32_e64 v13, 0, 1, s0
	v_cmp_eq_u32_e64 s0, 3, v14
	v_mul_f64 v[2:3], v[2:3], s[6:7]
	v_cvt_f64_f32_e32 v[6:7], v6
	v_lshl_or_b32 v14, v16, 12, v8
	v_or_b32_e32 v13, v15, v13
	s_or_b32 vcc_lo, s0, vcc_lo
	v_add_co_ci_u32_e32 v10, vcc_lo, 0, v10, vcc_lo
	v_cmp_ne_u32_e32 vcc_lo, 0, v4
	v_cndmask_b32_e64 v4, 0, 1, vcc_lo
	v_cmp_gt_i32_e32 vcc_lo, 1, v16
	v_lshl_or_b32 v4, v4, 9, 0x7c00
	v_cndmask_b32_e32 v13, v14, v13, vcc_lo
	v_cmp_gt_i32_e32 vcc_lo, 31, v18
	v_lshl_or_b32 v14, v20, 16, v11
	v_and_or_b32 v2, 0x1ff, v3, v2
	v_mul_f64 v[6:7], v[6:7], s[6:7]
	v_and_b32_e32 v12, 7, v13
	v_cndmask_b32_e32 v10, 0x7c00, v10, vcc_lo
	v_cmp_eq_u32_e32 vcc_lo, 0x40f, v18
	v_cmp_ne_u32_e64 s1, 0, v2
	v_bfe_u32 v15, v3, 20, 11
	v_cmp_eq_u32_e64 s0, 3, v12
	v_cndmask_b32_e32 v4, v10, v4, vcc_lo
	v_cmp_lt_i32_e32 vcc_lo, 5, v12
	v_lshrrev_b32_e32 v12, 2, v13
	v_cndmask_b32_e64 v2, 0, 1, s1
	v_lshrrev_b32_e32 v13, 8, v3
	ds_read2_b32 v[10:11], v45 offset0:102 offset1:119
	s_or_b32 vcc_lo, s0, vcc_lo
	v_and_or_b32 v4, 0x8000, v5, v4
	v_add_co_ci_u32_e32 v12, vcc_lo, 0, v12, vcc_lo
	v_cmp_ne_u32_e32 vcc_lo, 0, v8
	v_and_or_b32 v2, 0xffe, v13, v2
	v_sub_nc_u32_e32 v13, 0x3f1, v15
	v_add_nc_u32_e32 v15, 0xfffffc10, v15
	v_and_or_b32 v6, 0x1ff, v7, v6
	v_cndmask_b32_e64 v8, 0, 1, vcc_lo
	v_cmp_gt_i32_e32 vcc_lo, 31, v16
	v_or_b32_e32 v17, 0x1000, v2
	v_med3_i32 v13, v13, 0, 13
	v_bfe_u32 v18, v7, 20, 11
	v_lshl_or_b32 v8, v8, 9, 0x7c00
	v_cndmask_b32_e32 v12, 0x7c00, v12, vcc_lo
	v_cmp_eq_u32_e32 vcc_lo, 0x40f, v16
	v_and_b32_e32 v19, 0xffff, v4
	s_waitcnt lgkmcnt(0)
	v_lshrrev_b32_e32 v16, 16, v10
	v_cndmask_b32_e32 v8, v12, v8, vcc_lo
	v_lshrrev_b32_e32 v12, v13, v17
	v_cmp_ne_u32_e32 vcc_lo, 0, v6
	v_and_or_b32 v8, 0x8000, v9, v8
	v_lshlrev_b32_e32 v5, v13, v12
	v_cndmask_b32_e64 v6, 0, 1, vcc_lo
	v_mul_f16_sdwa v9, v53, v16 dst_sel:DWORD dst_unused:UNUSED_PAD src0_sel:WORD_1 src1_sel:DWORD
	v_lshrrev_b32_e32 v13, 8, v7
	v_lshrrev_b32_e32 v7, 16, v7
	v_cmp_ne_u32_e32 vcc_lo, v5, v17
	v_fmac_f16_e32 v9, v53, v10
	v_and_or_b32 v6, 0xffe, v13, v6
	v_sub_nc_u32_e32 v13, 0x3f1, v18
	v_cndmask_b32_e64 v5, 0, 1, vcc_lo
	v_cmp_gt_i32_e32 vcc_lo, 1, v15
	v_or_b32_e32 v17, 0x1000, v6
	v_med3_i32 v13, v13, 0, 13
	v_or_b32_e32 v12, v12, v5
	v_cvt_f32_f16_e32 v5, v9
	v_lshl_or_b32 v9, v15, 12, v2
	v_lshrrev_b32_e32 v20, v13, v17
	v_cvt_f64_f32_e32 v[4:5], v5
	v_cndmask_b32_e32 v12, v9, v12, vcc_lo
	v_mul_f16_sdwa v9, v53, v10 dst_sel:DWORD dst_unused:UNUSED_PAD src0_sel:WORD_1 src1_sel:DWORD
	v_lshlrev_b32_e32 v13, v13, v20
	v_add_co_u32 v0, vcc_lo, v0, s3
	v_add_co_ci_u32_e32 v1, vcc_lo, s2, v1, vcc_lo
	v_lshl_or_b32 v10, v8, 16, v19
	v_and_b32_e32 v19, 7, v12
	v_cmp_ne_u32_e64 s0, v13, v17
	v_fma_f16 v16, v53, v16, -v9
	v_add_co_u32 v8, vcc_lo, v0, s3
	v_add_co_ci_u32_e32 v9, vcc_lo, s2, v1, vcc_lo
	v_cmp_lt_i32_e32 vcc_lo, 5, v19
	v_cndmask_b32_e64 v17, 0, 1, s0
	v_cmp_eq_u32_e64 s0, 3, v19
	v_cvt_f32_f16_e32 v13, v16
	v_add_nc_u32_e32 v16, 0xfffffc10, v18
	v_lshrrev_b32_e32 v18, 2, v12
	v_mul_f64 v[4:5], v[4:5], s[6:7]
	s_or_b32 vcc_lo, s0, vcc_lo
	v_cvt_f64_f32_e32 v[12:13], v13
	v_or_b32_e32 v17, v20, v17
	v_add_co_ci_u32_e32 v18, vcc_lo, 0, v18, vcc_lo
	v_cmp_ne_u32_e32 vcc_lo, 0, v2
	v_lshl_or_b32 v19, v16, 12, v6
	global_store_dword v[0:1], v14, off
	global_store_dword v[8:9], v10, off
	v_lshrrev_b32_e32 v14, 16, v3
	v_cndmask_b32_e64 v2, 0, 1, vcc_lo
	v_cmp_gt_i32_e32 vcc_lo, 1, v16
	v_lshl_or_b32 v2, v2, 9, 0x7c00
	v_cndmask_b32_e32 v17, v19, v17, vcc_lo
	v_cmp_gt_i32_e32 vcc_lo, 31, v15
	v_and_b32_e32 v0, 7, v17
	v_cndmask_b32_e32 v18, 0x7c00, v18, vcc_lo
	v_cmp_eq_u32_e32 vcc_lo, 0x40f, v15
	v_lshrrev_b32_e32 v3, 2, v17
	v_cmp_eq_u32_e64 s0, 3, v0
	v_cndmask_b32_e32 v10, v18, v2, vcc_lo
	v_and_or_b32 v2, 0x1ff, v5, v4
	v_cmp_lt_i32_e32 vcc_lo, 5, v0
	v_mul_f64 v[0:1], v[12:13], s[6:7]
	v_lshrrev_b32_e32 v4, 8, v5
	v_bfe_u32 v12, v5, 20, 11
	v_cmp_ne_u32_e64 s1, 0, v2
	s_or_b32 vcc_lo, s0, vcc_lo
	v_lshrrev_b32_e32 v13, 16, v11
	v_add_co_ci_u32_e32 v3, vcc_lo, 0, v3, vcc_lo
	v_cndmask_b32_e64 v2, 0, 1, s1
	v_cmp_ne_u32_e32 vcc_lo, 0, v6
	v_mul_f16_sdwa v15, v52, v13 dst_sel:DWORD dst_unused:UNUSED_PAD src0_sel:WORD_1 src1_sel:DWORD
	v_and_or_b32 v10, 0x8000, v14, v10
	v_and_or_b32 v4, 0xffe, v4, v2
	v_sub_nc_u32_e32 v2, 0x3f1, v12
	v_cndmask_b32_e64 v6, 0, 1, vcc_lo
	v_cmp_gt_i32_e32 vcc_lo, 31, v16
	v_fmac_f16_e32 v15, v52, v11
	v_or_b32_e32 v17, 0x1000, v4
	v_med3_i32 v2, v2, 0, 13
	v_lshl_or_b32 v6, v6, 9, 0x7c00
	v_cndmask_b32_e32 v3, 0x7c00, v3, vcc_lo
	v_and_or_b32 v0, 0x1ff, v1, v0
	v_cmp_eq_u32_e32 vcc_lo, 0x40f, v16
	v_lshrrev_b32_e32 v18, v2, v17
	v_cvt_f32_f16_e32 v15, v15
	v_add_nc_u32_e32 v12, 0xfffffc10, v12
	v_bfe_u32 v19, v1, 20, 11
	v_cndmask_b32_e32 v6, v3, v6, vcc_lo
	v_lshlrev_b32_e32 v16, v2, v18
	v_cmp_ne_u32_e32 vcc_lo, 0, v0
	v_cvt_f64_f32_e32 v[2:3], v15
	v_lshrrev_b32_e32 v15, 8, v1
	v_mul_f16_sdwa v11, v52, v11 dst_sel:DWORD dst_unused:UNUSED_PAD src0_sel:WORD_1 src1_sel:DWORD
	v_and_or_b32 v14, 0x8000, v7, v6
	v_cndmask_b32_e64 v0, 0, 1, vcc_lo
	v_cmp_ne_u32_e32 vcc_lo, v16, v17
	v_lshl_or_b32 v17, v12, 12, v4
	v_fma_f16 v6, v52, v13, -v11
	v_and_b32_e32 v13, 0xffff, v10
	v_and_or_b32 v0, 0xffe, v15, v0
	v_cndmask_b32_e64 v16, 0, 1, vcc_lo
	v_cmp_gt_i32_e32 vcc_lo, 1, v12
	v_sub_nc_u32_e32 v15, 0x3f1, v19
	v_cvt_f32_f16_e32 v6, v6
	v_lshrrev_b32_e32 v1, 16, v1
	v_or_b32_e32 v16, v18, v16
	v_or_b32_e32 v18, 0x1000, v0
	v_med3_i32 v15, v15, 0, 13
	v_lshl_or_b32 v14, v14, 16, v13
	v_cndmask_b32_e32 v16, v17, v16, vcc_lo
	v_lshrrev_b32_e32 v11, v15, v18
	v_mul_f64 v[2:3], v[2:3], s[6:7]
	v_and_b32_e32 v7, 7, v16
	v_lshlrev_b32_e32 v10, v15, v11
	v_lshrrev_b32_e32 v15, 2, v16
	v_add_nc_u32_e32 v16, 0xfffffc10, v19
	v_cmp_lt_i32_e32 vcc_lo, 5, v7
	v_cmp_eq_u32_e64 s0, 3, v7
	v_cvt_f64_f32_e32 v[6:7], v6
	v_cmp_ne_u32_e64 s1, v10, v18
	v_lshl_or_b32 v18, v16, 12, v0
	s_or_b32 vcc_lo, s0, vcc_lo
	v_add_co_ci_u32_e32 v15, vcc_lo, 0, v15, vcc_lo
	v_cmp_ne_u32_e32 vcc_lo, 0, v4
	v_cndmask_b32_e64 v10, 0, 1, s1
	v_cndmask_b32_e64 v4, 0, 1, vcc_lo
	v_cmp_gt_i32_e32 vcc_lo, 31, v12
	v_or_b32_e32 v17, v11, v10
	ds_read2_b32 v[10:11], v45 offset0:136 offset1:153
	v_and_or_b32 v2, 0x1ff, v3, v2
	v_lshl_or_b32 v4, v4, 9, 0x7c00
	v_cndmask_b32_e32 v15, 0x7c00, v15, vcc_lo
	v_cmp_gt_i32_e32 vcc_lo, 1, v16
	v_bfe_u32 v19, v3, 20, 11
	v_cndmask_b32_e32 v17, v18, v17, vcc_lo
	v_cmp_eq_u32_e32 vcc_lo, 0x40f, v12
	v_and_b32_e32 v18, 7, v17
	v_cndmask_b32_e32 v12, v15, v4, vcc_lo
	v_lshrrev_b32_e32 v15, 16, v5
	v_mul_f64 v[4:5], v[6:7], s[6:7]
	v_cmp_ne_u32_e32 vcc_lo, 0, v2
	v_cmp_eq_u32_e64 s0, 3, v18
	v_lshrrev_b32_e32 v6, 8, v3
	v_lshrrev_b32_e32 v7, 2, v17
	s_waitcnt lgkmcnt(0)
	v_lshrrev_b32_e32 v17, 16, v10
	v_cndmask_b32_e64 v2, 0, 1, vcc_lo
	v_cmp_lt_i32_e32 vcc_lo, 5, v18
	v_and_or_b32 v12, 0x8000, v15, v12
	v_mul_f16_sdwa v20, v51, v17 dst_sel:DWORD dst_unused:UNUSED_PAD src0_sel:WORD_1 src1_sel:DWORD
	v_and_or_b32 v2, 0xffe, v6, v2
	s_or_b32 vcc_lo, s0, vcc_lo
	v_sub_nc_u32_e32 v6, 0x3f1, v19
	v_add_co_ci_u32_e32 v7, vcc_lo, 0, v7, vcc_lo
	v_cmp_gt_i32_e32 vcc_lo, 31, v16
	v_or_b32_e32 v18, 0x1000, v2
	v_med3_i32 v6, v6, 0, 13
	v_fmac_f16_e32 v20, v51, v10
	v_add_nc_u32_e32 v19, 0xfffffc10, v19
	v_cndmask_b32_e32 v15, 0x7c00, v7, vcc_lo
	v_and_or_b32 v4, 0x1ff, v5, v4
	v_cmp_ne_u32_e32 vcc_lo, 0, v0
	v_lshrrev_b32_e32 v21, v6, v18
	v_bfe_u32 v23, v5, 20, 11
	v_and_b32_e32 v12, 0xffff, v12
	v_mul_f16_sdwa v10, v51, v10 dst_sel:DWORD dst_unused:UNUSED_PAD src0_sel:WORD_1 src1_sel:DWORD
	v_cndmask_b32_e64 v0, 0, 1, vcc_lo
	v_cmp_ne_u32_e32 vcc_lo, 0, v4
	v_lshlrev_b32_e32 v22, v6, v21
	v_cvt_f32_f16_e32 v6, v20
	v_lshrrev_b32_e32 v20, 8, v5
	v_lshl_or_b32 v0, v0, 9, 0x7c00
	v_cndmask_b32_e64 v4, 0, 1, vcc_lo
	v_cmp_ne_u32_e32 vcc_lo, v22, v18
	v_cvt_f64_f32_e32 v[6:7], v6
	v_lshrrev_b32_e32 v5, 16, v5
	v_and_or_b32 v4, 0xffe, v20, v4
	v_sub_nc_u32_e32 v20, 0x3f1, v23
	v_cndmask_b32_e64 v18, 0, 1, vcc_lo
	v_cmp_eq_u32_e32 vcc_lo, 0x40f, v16
	v_or_b32_e32 v22, 0x1000, v4
	v_med3_i32 v20, v20, 0, 13
	v_or_b32_e32 v18, v21, v18
	v_lshl_or_b32 v21, v19, 12, v2
	v_cndmask_b32_e32 v0, v15, v0, vcc_lo
	v_cmp_gt_i32_e32 vcc_lo, 1, v19
	v_lshrrev_b32_e32 v16, v20, v22
	v_and_or_b32 v13, 0x8000, v1, v0
	v_cndmask_b32_e32 v15, v21, v18, vcc_lo
	v_lshlrev_b32_e32 v20, v20, v16
	v_mul_f64 v[0:1], v[6:7], s[6:7]
	v_and_b32_e32 v18, 7, v15
	v_cmp_ne_u32_e64 s0, v20, v22
	v_add_co_u32 v6, vcc_lo, v8, s3
	v_add_co_ci_u32_e32 v7, vcc_lo, s2, v9, vcc_lo
	v_cmp_lt_i32_e32 vcc_lo, 5, v18
	v_cndmask_b32_e64 v9, 0, 1, s0
	v_cmp_eq_u32_e64 s0, 3, v18
	v_lshl_or_b32 v21, v13, 16, v12
	v_lshrrev_b32_e32 v12, 2, v15
	v_fma_f16 v8, v51, v17, -v10
	v_add_nc_u32_e32 v10, 0xfffffc10, v23
	s_or_b32 vcc_lo, s0, vcc_lo
	v_or_b32_e32 v13, v16, v9
	v_add_co_ci_u32_e32 v12, vcc_lo, 0, v12, vcc_lo
	v_cmp_ne_u32_e32 vcc_lo, 0, v2
	v_cvt_f32_f16_e32 v8, v8
	v_lshl_or_b32 v15, v10, 12, v4
	v_lshrrev_b32_e32 v18, 16, v3
	v_and_or_b32 v0, 0x1ff, v1, v0
	v_cndmask_b32_e64 v2, 0, 1, vcc_lo
	v_cmp_gt_i32_e32 vcc_lo, 1, v10
	v_cvt_f64_f32_e32 v[8:9], v8
	v_lshrrev_b32_e32 v16, 8, v1
	v_bfe_u32 v17, v1, 20, 11
	v_lshl_or_b32 v2, v2, 9, 0x7c00
	v_cndmask_b32_e32 v13, v15, v13, vcc_lo
	v_cmp_gt_i32_e32 vcc_lo, 31, v19
	v_lshrrev_b32_e32 v22, 16, v11
	global_store_dword v[6:7], v14, off
	v_and_b32_e32 v15, 7, v13
	v_cndmask_b32_e32 v12, 0x7c00, v12, vcc_lo
	v_cmp_ne_u32_e32 vcc_lo, 0, v0
	v_lshrrev_b32_e32 v13, 2, v13
	v_cmp_eq_u32_e64 s0, 3, v15
	v_cndmask_b32_e64 v0, 0, 1, vcc_lo
	v_cmp_eq_u32_e32 vcc_lo, 0x40f, v19
	v_and_or_b32 v0, 0xffe, v16, v0
	v_cndmask_b32_e32 v12, v12, v2, vcc_lo
	v_sub_nc_u32_e32 v2, 0x3f1, v17
	v_mul_f64 v[8:9], v[8:9], s[6:7]
	v_cmp_lt_i32_e32 vcc_lo, 5, v15
	v_or_b32_e32 v15, 0x1000, v0
	v_and_or_b32 v18, 0x8000, v18, v12
	v_med3_i32 v16, v2, 0, 13
	s_or_b32 vcc_lo, s0, vcc_lo
	v_add_co_ci_u32_e32 v13, vcc_lo, 0, v13, vcc_lo
	v_lshrrev_b32_e32 v19, v16, v15
	v_add_co_u32 v2, vcc_lo, v6, s3
	v_add_co_ci_u32_e32 v3, vcc_lo, s2, v7, vcc_lo
	v_lshlrev_b32_e32 v16, v16, v19
	v_cmp_gt_i32_e32 vcc_lo, 31, v10
	v_and_b32_e32 v18, 0xffff, v18
	global_store_dword v[2:3], v21, off
	v_cndmask_b32_e32 v20, 0x7c00, v13, vcc_lo
	v_cmp_ne_u32_e32 vcc_lo, v16, v15
	v_and_or_b32 v8, 0x1ff, v9, v8
	v_mul_f16_sdwa v13, v50, v22 dst_sel:DWORD dst_unused:UNUSED_PAD src0_sel:WORD_1 src1_sel:DWORD
	v_add_nc_u32_e32 v15, 0xfffffc10, v17
	v_lshrrev_b32_e32 v17, 8, v9
	v_cndmask_b32_e64 v12, 0, 1, vcc_lo
	v_cmp_ne_u32_e32 vcc_lo, 0, v4
	v_fmac_f16_e32 v13, v50, v11
	v_lshl_or_b32 v16, v15, 12, v0
	v_or_b32_e32 v12, v19, v12
	v_cndmask_b32_e64 v4, 0, 1, vcc_lo
	v_cmp_ne_u32_e32 vcc_lo, 0, v8
	v_bfe_u32 v19, v9, 20, 11
	v_cvt_f32_f16_e32 v13, v13
	v_lshrrev_b32_e32 v9, 16, v9
	v_lshl_or_b32 v4, v4, 9, 0x7c00
	v_cndmask_b32_e64 v8, 0, 1, vcc_lo
	v_cmp_gt_i32_e32 vcc_lo, 1, v15
	v_and_or_b32 v8, 0xffe, v17, v8
	v_sub_nc_u32_e32 v17, 0x3f1, v19
	v_cndmask_b32_e32 v16, v16, v12, vcc_lo
	v_cvt_f64_f32_e32 v[12:13], v13
	v_cmp_eq_u32_e32 vcc_lo, 0x40f, v10
	v_or_b32_e32 v24, 0x1000, v8
	v_med3_i32 v17, v17, 0, 13
	v_and_b32_e32 v23, 7, v16
	v_mul_f16_sdwa v10, v50, v11 dst_sel:DWORD dst_unused:UNUSED_PAD src0_sel:WORD_1 src1_sel:DWORD
	v_cndmask_b32_e32 v4, v20, v4, vcc_lo
	v_lshrrev_b32_e32 v20, v17, v24
	v_cmp_lt_i32_e32 vcc_lo, 5, v23
	v_cmp_eq_u32_e64 s0, 3, v23
	v_and_or_b32 v23, 0x8000, v5, v4
	v_lshrrev_b32_e32 v4, 2, v16
	v_fma_f16 v5, v50, v22, -v10
	v_lshlrev_b32_e32 v10, v17, v20
	s_or_b32 vcc_lo, s0, vcc_lo
	v_lshl_or_b32 v14, v23, 16, v18
	v_add_co_ci_u32_e32 v16, vcc_lo, 0, v4, vcc_lo
	v_cmp_ne_u32_e32 vcc_lo, v10, v24
	v_cvt_f32_f16_e32 v11, v5
	v_mul_f64 v[4:5], v[12:13], s[6:7]
	v_add_nc_u32_e32 v12, 0xfffffc10, v19
	v_cndmask_b32_e64 v17, 0, 1, vcc_lo
	v_cmp_ne_u32_e32 vcc_lo, 0, v0
	v_cvt_f64_f32_e32 v[10:11], v11
	v_or_b32_e32 v13, v20, v17
	v_cndmask_b32_e64 v0, 0, 1, vcc_lo
	v_cmp_gt_i32_e32 vcc_lo, 31, v15
	v_lshl_or_b32 v17, v12, 12, v8
	v_lshl_or_b32 v0, v0, 9, 0x7c00
	v_cndmask_b32_e32 v16, 0x7c00, v16, vcc_lo
	v_cmp_gt_i32_e32 vcc_lo, 1, v12
	v_cndmask_b32_e32 v13, v17, v13, vcc_lo
	v_cmp_eq_u32_e32 vcc_lo, 0x40f, v15
	v_and_or_b32 v4, 0x1ff, v5, v4
	v_and_b32_e32 v6, 7, v13
	v_cndmask_b32_e32 v15, v16, v0, vcc_lo
	v_lshrrev_b32_e32 v16, 16, v1
	ds_read2_b32 v[0:1], v45 offset0:170 offset1:187
	v_cmp_ne_u32_e64 s1, 0, v4
	v_cmp_lt_i32_e32 vcc_lo, 5, v6
	v_cmp_eq_u32_e64 s0, 3, v6
	v_mul_f64 v[6:7], v[10:11], s[6:7]
	v_lshrrev_b32_e32 v10, 2, v13
	v_cndmask_b32_e64 v4, 0, 1, s1
	v_lshrrev_b32_e32 v11, 8, v5
	v_bfe_u32 v13, v5, 20, 11
	s_or_b32 vcc_lo, s0, vcc_lo
	v_and_or_b32 v15, 0x8000, v16, v15
	v_add_co_ci_u32_e32 v10, vcc_lo, 0, v10, vcc_lo
	v_and_or_b32 v4, 0xffe, v11, v4
	v_sub_nc_u32_e32 v11, 0x3f1, v13
	v_cmp_ne_u32_e32 vcc_lo, 0, v8
	v_or_b32_e32 v17, 0x1000, v4
	v_med3_i32 v11, v11, 0, 13
	s_waitcnt lgkmcnt(0)
	v_lshrrev_b32_e32 v16, 16, v0
	v_cndmask_b32_e64 v8, 0, 1, vcc_lo
	v_cmp_gt_i32_e32 vcc_lo, 31, v12
	v_lshrrev_b32_e32 v19, v11, v17
	v_mul_f16_sdwa v18, v49, v16 dst_sel:DWORD dst_unused:UNUSED_PAD src0_sel:WORD_1 src1_sel:DWORD
	v_lshl_or_b32 v8, v8, 9, 0x7c00
	v_cndmask_b32_e32 v10, 0x7c00, v10, vcc_lo
	v_and_or_b32 v6, 0x1ff, v7, v6
	v_cmp_eq_u32_e32 vcc_lo, 0x40f, v12
	v_fmac_f16_e32 v18, v49, v0
	v_lshlrev_b32_e32 v12, v11, v19
	v_bfe_u32 v20, v7, 20, 11
	v_mul_f16_sdwa v0, v49, v0 dst_sel:DWORD dst_unused:UNUSED_PAD src0_sel:WORD_1 src1_sel:DWORD
	v_cndmask_b32_e32 v8, v10, v8, vcc_lo
	v_cmp_ne_u32_e32 vcc_lo, 0, v6
	v_cvt_f32_f16_e32 v10, v18
	v_lshrrev_b32_e32 v18, 8, v7
	v_fma_f16 v0, v49, v16, -v0
	v_and_or_b32 v8, 0x8000, v9, v8
	v_cndmask_b32_e64 v6, 0, 1, vcc_lo
	v_cmp_ne_u32_e32 vcc_lo, v12, v17
	v_cvt_f64_f32_e32 v[10:11], v10
	v_add_nc_u32_e32 v17, 0xfffffc10, v13
	v_sub_nc_u32_e32 v13, 0x3f1, v20
	v_and_or_b32 v6, 0xffe, v18, v6
	v_cndmask_b32_e64 v12, 0, 1, vcc_lo
	v_and_b32_e32 v9, 0xffff, v15
	v_lshl_or_b32 v18, v17, 12, v4
	v_med3_i32 v13, v13, 0, 13
	v_cmp_gt_i32_e32 vcc_lo, 1, v17
	v_or_b32_e32 v12, v19, v12
	v_or_b32_e32 v19, 0x1000, v6
	v_cvt_f32_f16_e32 v0, v0
	v_add_nc_u32_e32 v16, 0xfffffc10, v20
	v_cndmask_b32_e32 v12, v18, v12, vcc_lo
	v_lshrrev_b32_e32 v15, v13, v19
	v_add_co_u32 v2, vcc_lo, v2, s3
	v_add_co_ci_u32_e32 v3, vcc_lo, s2, v3, vcc_lo
	v_lshlrev_b32_e32 v13, v13, v15
	v_and_b32_e32 v21, 7, v12
	v_lshl_or_b32 v18, v8, 16, v9
	v_mul_f64 v[8:9], v[10:11], s[6:7]
	v_add_co_u32 v10, vcc_lo, v2, s3
	v_cmp_ne_u32_e64 s0, v13, v19
	v_add_co_ci_u32_e32 v11, vcc_lo, s2, v3, vcc_lo
	v_cmp_lt_i32_e32 vcc_lo, 5, v21
	v_lshrrev_b32_e32 v19, 2, v12
	v_cndmask_b32_e64 v13, 0, 1, s0
	v_cmp_eq_u32_e64 s0, 3, v21
	v_lshl_or_b32 v20, v16, 12, v6
	global_store_dword v[2:3], v14, off
	global_store_dword v[10:11], v18, off
	v_or_b32_e32 v15, v15, v13
	s_or_b32 vcc_lo, s0, vcc_lo
	v_cvt_f64_f32_e32 v[12:13], v0
	v_add_co_ci_u32_e32 v0, vcc_lo, 0, v19, vcc_lo
	v_cmp_ne_u32_e32 vcc_lo, 0, v4
	v_and_or_b32 v8, 0x1ff, v9, v8
	v_cndmask_b32_e64 v4, 0, 1, vcc_lo
	v_cmp_gt_i32_e32 vcc_lo, 1, v16
	v_bfe_u32 v21, v9, 20, 11
	v_lshl_or_b32 v4, v4, 9, 0x7c00
	v_cndmask_b32_e32 v15, v20, v15, vcc_lo
	v_cmp_gt_i32_e32 vcc_lo, 31, v17
	v_lshrrev_b32_e32 v20, 8, v9
	v_lshrrev_b32_e32 v9, 16, v9
	v_and_b32_e32 v19, 7, v15
	v_cndmask_b32_e32 v0, 0x7c00, v0, vcc_lo
	v_cmp_ne_u32_e32 vcc_lo, 0, v8
	v_cmp_eq_u32_e64 s0, 3, v19
	v_cndmask_b32_e64 v8, 0, 1, vcc_lo
	v_cmp_eq_u32_e32 vcc_lo, 0x40f, v17
	v_lshrrev_b32_e32 v17, 16, v5
	v_and_or_b32 v8, 0xffe, v20, v8
	v_cndmask_b32_e32 v0, v0, v4, vcc_lo
	v_cmp_lt_i32_e32 vcc_lo, 5, v19
	v_mul_f64 v[4:5], v[12:13], s[6:7]
	v_lshrrev_b32_e32 v12, 2, v15
	v_sub_nc_u32_e32 v20, 0x3f1, v21
	v_or_b32_e32 v13, 0x1000, v8
	s_or_b32 vcc_lo, s0, vcc_lo
	v_lshrrev_b32_e32 v19, 16, v1
	v_add_co_ci_u32_e32 v12, vcc_lo, 0, v12, vcc_lo
	v_med3_i32 v15, v20, 0, 13
	v_cmp_ne_u32_e32 vcc_lo, 0, v6
	v_mul_f16_sdwa v22, v48, v19 dst_sel:DWORD dst_unused:UNUSED_PAD src0_sel:WORD_1 src1_sel:DWORD
	v_and_or_b32 v0, 0x8000, v17, v0
	v_lshrrev_b32_e32 v20, v15, v13
	v_cndmask_b32_e64 v6, 0, 1, vcc_lo
	v_cmp_gt_i32_e32 vcc_lo, 31, v16
	v_fmac_f16_e32 v22, v48, v1
	v_and_b32_e32 v0, 0xffff, v0
	v_lshlrev_b32_e32 v15, v15, v20
	v_lshl_or_b32 v6, v6, 9, 0x7c00
	v_cndmask_b32_e32 v12, 0x7c00, v12, vcc_lo
	v_cmp_eq_u32_e32 vcc_lo, 0x40f, v16
	v_and_or_b32 v4, 0x1ff, v5, v4
	v_lshrrev_b32_e32 v16, 16, v7
	v_lshrrev_b32_e32 v17, 8, v5
	v_cndmask_b32_e32 v12, v12, v6, vcc_lo
	v_cmp_ne_u32_e32 vcc_lo, v15, v13
	v_cvt_f32_f16_e32 v6, v22
	v_add_nc_u32_e32 v15, 0xfffffc10, v21
	v_bfe_u32 v21, v5, 20, 11
	v_and_or_b32 v12, 0x8000, v16, v12
	v_cndmask_b32_e64 v13, 0, 1, vcc_lo
	v_cmp_ne_u32_e32 vcc_lo, 0, v4
	v_cvt_f64_f32_e32 v[6:7], v6
	v_lshl_or_b32 v16, v15, 12, v8
	v_lshl_or_b32 v12, v12, 16, v0
	v_or_b32_e32 v13, v20, v13
	v_cndmask_b32_e64 v4, 0, 1, vcc_lo
	v_cmp_gt_i32_e32 vcc_lo, 1, v15
	v_and_or_b32 v4, 0xffe, v17, v4
	v_sub_nc_u32_e32 v17, 0x3f1, v21
	v_cndmask_b32_e32 v13, v16, v13, vcc_lo
	v_add_co_u32 v2, vcc_lo, v10, s3
	v_or_b32_e32 v16, 0x1000, v4
	v_med3_i32 v17, v17, 0, 13
	v_and_b32_e32 v0, 7, v13
	v_add_co_ci_u32_e32 v3, vcc_lo, s2, v11, vcc_lo
	v_lshrrev_b32_e32 v14, v17, v16
	v_cmp_lt_i32_e32 vcc_lo, 5, v0
	v_mul_f64 v[6:7], v[6:7], s[6:7]
	v_cmp_eq_u32_e64 s0, 3, v0
	v_mul_f16_sdwa v0, v48, v1 dst_sel:DWORD dst_unused:UNUSED_PAD src0_sel:WORD_1 src1_sel:DWORD
	v_lshlrev_b32_e32 v10, v17, v14
	v_lshrrev_b32_e32 v1, 2, v13
	v_add_nc_u32_e32 v13, 0xfffffc10, v21
	s_or_b32 vcc_lo, s0, vcc_lo
	v_fma_f16 v0, v48, v19, -v0
	v_cmp_ne_u32_e64 s1, v10, v16
	v_add_co_ci_u32_e32 v16, vcc_lo, 0, v1, vcc_lo
	v_cmp_ne_u32_e32 vcc_lo, 0, v8
	v_lshl_or_b32 v17, v13, 12, v4
	v_cndmask_b32_e64 v10, 0, 1, s1
	global_store_dword v[2:3], v12, off
	v_cndmask_b32_e64 v8, 0, 1, vcc_lo
	v_cmp_gt_i32_e32 vcc_lo, 1, v13
	v_or_b32_e32 v14, v14, v10
	v_cvt_f32_f16_e32 v10, v0
	ds_read2_b32 v[0:1], v45 offset0:204 offset1:221
	v_lshl_or_b32 v8, v8, 9, 0x7c00
	v_and_or_b32 v6, 0x1ff, v7, v6
	v_cndmask_b32_e32 v14, v17, v14, vcc_lo
	v_cvt_f64_f32_e32 v[10:11], v10
	v_cmp_gt_i32_e32 vcc_lo, 31, v15
	v_lshrrev_b32_e32 v18, 8, v7
	v_bfe_u32 v19, v7, 20, 11
	v_and_b32_e32 v17, 7, v14
	v_lshrrev_b32_e32 v14, 2, v14
	v_cndmask_b32_e32 v16, 0x7c00, v16, vcc_lo
	v_cmp_ne_u32_e32 vcc_lo, 0, v6
	v_cmp_eq_u32_e64 s0, 3, v17
	v_cndmask_b32_e64 v6, 0, 1, vcc_lo
	v_cmp_eq_u32_e32 vcc_lo, 0x40f, v15
	v_sub_nc_u32_e32 v15, 0x3f1, v19
	v_and_or_b32 v6, 0xffe, v18, v6
	v_cndmask_b32_e32 v8, v16, v8, vcc_lo
	v_cmp_lt_i32_e32 vcc_lo, 5, v17
	v_med3_i32 v15, v15, 0, 13
	s_waitcnt lgkmcnt(0)
	v_lshrrev_b32_e32 v16, 16, v0
	v_mul_f64 v[10:11], v[10:11], s[6:7]
	v_or_b32_e32 v17, 0x1000, v6
	s_or_b32 vcc_lo, s0, vcc_lo
	v_and_or_b32 v8, 0x8000, v9, v8
	v_add_co_ci_u32_e32 v14, vcc_lo, 0, v14, vcc_lo
	v_cmp_ne_u32_e32 vcc_lo, 0, v4
	v_lshrrev_b32_e32 v20, v15, v17
	v_mul_f16_sdwa v18, v47, v16 dst_sel:DWORD dst_unused:UNUSED_PAD src0_sel:WORD_1 src1_sel:DWORD
	v_and_b32_e32 v8, 0xffff, v8
	v_cndmask_b32_e64 v4, 0, 1, vcc_lo
	v_cmp_gt_i32_e32 vcc_lo, 31, v13
	v_lshlrev_b32_e32 v15, v15, v20
	v_fmac_f16_e32 v18, v47, v0
	v_mul_f16_sdwa v0, v47, v0 dst_sel:DWORD dst_unused:UNUSED_PAD src0_sel:WORD_1 src1_sel:DWORD
	v_lshl_or_b32 v4, v4, 9, 0x7c00
	v_cndmask_b32_e32 v14, 0x7c00, v14, vcc_lo
	v_cmp_eq_u32_e32 vcc_lo, 0x40f, v13
	v_cvt_f32_f16_e32 v18, v18
	v_fma_f16 v0, v47, v16, -v0
	v_and_or_b32 v10, 0x1ff, v11, v10
	v_cndmask_b32_e32 v13, v14, v4, vcc_lo
	v_cmp_ne_u32_e32 vcc_lo, v15, v17
	v_lshrrev_b32_e32 v14, 16, v5
	v_add_nc_u32_e32 v17, 0xfffffc10, v19
	v_cvt_f64_f32_e32 v[4:5], v18
	v_bfe_u32 v18, v11, 20, 11
	v_cndmask_b32_e64 v15, 0, 1, vcc_lo
	v_cmp_ne_u32_e32 vcc_lo, 0, v10
	v_and_or_b32 v9, 0x8000, v14, v13
	v_lshl_or_b32 v14, v17, 12, v6
	v_cvt_f32_f16_e32 v0, v0
	v_or_b32_e32 v13, v20, v15
	v_cndmask_b32_e64 v10, 0, 1, vcc_lo
	v_lshrrev_b32_e32 v15, 8, v11
	v_cmp_gt_i32_e32 vcc_lo, 1, v17
	v_lshl_or_b32 v8, v9, 16, v8
	v_lshrrev_b32_e32 v11, 16, v11
	v_and_or_b32 v10, 0xffe, v15, v10
	v_cndmask_b32_e32 v13, v14, v13, vcc_lo
	v_sub_nc_u32_e32 v14, 0x3f1, v18
	v_add_co_u32 v2, vcc_lo, v2, s3
	v_or_b32_e32 v12, 0x1000, v10
	v_and_b32_e32 v9, 7, v13
	v_med3_i32 v14, v14, 0, 13
	v_add_co_ci_u32_e32 v3, vcc_lo, s2, v3, vcc_lo
	v_mul_f64 v[4:5], v[4:5], s[6:7]
	v_cmp_lt_i32_e32 vcc_lo, 5, v9
	v_lshrrev_b32_e32 v15, v14, v12
	v_cmp_eq_u32_e64 s0, 3, v9
	global_store_dword v[2:3], v8, off
	v_lshrrev_b32_e32 v8, 2, v13
	v_lshlrev_b32_e32 v9, v14, v15
	s_or_b32 vcc_lo, s0, vcc_lo
	v_add_nc_u32_e32 v14, 0xfffffc10, v18
	v_add_co_ci_u32_e32 v13, vcc_lo, 0, v8, vcc_lo
	v_cmp_ne_u32_e32 vcc_lo, v9, v12
	v_cvt_f64_f32_e32 v[8:9], v0
	v_lshrrev_b32_e32 v18, 16, v1
	v_cndmask_b32_e64 v12, 0, 1, vcc_lo
	v_cmp_ne_u32_e32 vcc_lo, 0, v6
	v_or_b32_e32 v0, v15, v12
	v_cndmask_b32_e64 v6, 0, 1, vcc_lo
	v_cmp_gt_i32_e32 vcc_lo, 31, v17
	v_lshl_or_b32 v12, v14, 12, v10
	v_and_or_b32 v4, 0x1ff, v5, v4
	v_bfe_u32 v15, v5, 20, 11
	v_lshl_or_b32 v6, v6, 9, 0x7c00
	v_cndmask_b32_e32 v13, 0x7c00, v13, vcc_lo
	v_cmp_gt_i32_e32 vcc_lo, 1, v14
	v_cndmask_b32_e32 v0, v12, v0, vcc_lo
	v_cmp_ne_u32_e32 vcc_lo, 0, v4
	v_lshrrev_b32_e32 v12, 8, v5
	v_lshrrev_b32_e32 v5, 16, v5
	v_and_b32_e32 v16, 7, v0
	v_cndmask_b32_e64 v4, 0, 1, vcc_lo
	v_cmp_eq_u32_e32 vcc_lo, 0x40f, v17
	v_sub_nc_u32_e32 v17, 0x3f1, v15
	v_lshrrev_b32_e32 v0, 2, v0
	v_cmp_eq_u32_e64 s0, 3, v16
	v_and_or_b32 v4, 0xffe, v12, v4
	v_cndmask_b32_e32 v13, v13, v6, vcc_lo
	v_cmp_lt_i32_e32 vcc_lo, 5, v16
	v_lshrrev_b32_e32 v12, 16, v7
	v_mul_f64 v[6:7], v[8:9], s[6:7]
	v_or_b32_e32 v19, 0x1000, v4
	v_med3_i32 v8, v17, 0, 13
	v_mul_f16_sdwa v9, v46, v18 dst_sel:DWORD dst_unused:UNUSED_PAD src0_sel:WORD_1 src1_sel:DWORD
	s_or_b32 vcc_lo, s0, vcc_lo
	v_and_or_b32 v12, 0x8000, v12, v13
	v_add_co_ci_u32_e32 v0, vcc_lo, 0, v0, vcc_lo
	v_lshrrev_b32_e32 v13, v8, v19
	v_cmp_ne_u32_e32 vcc_lo, 0, v10
	v_fmac_f16_e32 v9, v46, v1
	v_add_nc_u32_e32 v15, 0xfffffc10, v15
	v_mul_f16_sdwa v1, v46, v1 dst_sel:DWORD dst_unused:UNUSED_PAD src0_sel:WORD_1 src1_sel:DWORD
	v_lshlrev_b32_e32 v16, v8, v13
	v_cndmask_b32_e64 v10, 0, 1, vcc_lo
	v_cmp_gt_i32_e32 vcc_lo, 31, v14
	v_cvt_f32_f16_e32 v9, v9
	v_lshl_or_b32 v10, v10, 9, 0x7c00
	v_cndmask_b32_e32 v0, 0x7c00, v0, vcc_lo
	v_cmp_ne_u32_e32 vcc_lo, v16, v19
	v_cvt_f64_f32_e32 v[8:9], v9
	v_and_or_b32 v6, 0x1ff, v7, v6
	v_cndmask_b32_e64 v16, 0, 1, vcc_lo
	v_cmp_eq_u32_e32 vcc_lo, 0x40f, v14
	v_lshrrev_b32_e32 v14, 8, v7
	v_cndmask_b32_e32 v0, v0, v10, vcc_lo
	v_cmp_ne_u32_e32 vcc_lo, 0, v6
	v_or_b32_e32 v10, v13, v16
	v_lshl_or_b32 v13, v15, 12, v4
	v_bfe_u32 v16, v7, 20, 11
	v_and_or_b32 v0, 0x8000, v11, v0
	v_cndmask_b32_e64 v6, 0, 1, vcc_lo
	v_cmp_gt_i32_e32 vcc_lo, 1, v15
	v_and_b32_e32 v11, 0xffff, v12
	v_lshrrev_b32_e32 v7, 16, v7
	v_and_or_b32 v6, 0xffe, v14, v6
	v_cndmask_b32_e32 v10, v13, v10, vcc_lo
	v_sub_nc_u32_e32 v13, 0x3f1, v16
	v_mul_f64 v[8:9], v[8:9], s[6:7]
	v_lshl_or_b32 v17, v0, 16, v11
	v_or_b32_e32 v14, 0x1000, v6
	v_and_b32_e32 v12, 7, v10
	v_med3_i32 v13, v13, 0, 13
	v_add_co_u32 v0, s1, v2, s3
	v_lshrrev_b32_e32 v2, 2, v10
	v_cmp_lt_i32_e32 vcc_lo, 5, v12
	v_cmp_eq_u32_e64 s0, 3, v12
	v_lshrrev_b32_e32 v12, v13, v14
	v_fma_f16 v11, v46, v18, -v1
	v_add_nc_u32_e32 v16, 0xfffffc10, v16
	v_add_co_ci_u32_e64 v1, s1, s2, v3, s1
	v_lshlrev_b32_e32 v10, v13, v12
	s_or_b32 vcc_lo, s0, vcc_lo
	v_cvt_f32_f16_e32 v11, v11
	v_add_co_ci_u32_e32 v13, vcc_lo, 0, v2, vcc_lo
	v_cmp_ne_u32_e32 vcc_lo, v10, v14
	ds_read2_b32 v[2:3], v45 offset0:238 offset1:255
	v_and_or_b32 v8, 0x1ff, v9, v8
	v_cvt_f64_f32_e32 v[10:11], v11
	v_lshrrev_b32_e32 v18, 8, v9
	v_cndmask_b32_e64 v14, 0, 1, vcc_lo
	v_cmp_gt_i32_e32 vcc_lo, 31, v15
	v_bfe_u32 v19, v9, 20, 11
	v_or_b32_e32 v12, v12, v14
	v_cndmask_b32_e32 v13, 0x7c00, v13, vcc_lo
	v_cmp_ne_u32_e32 vcc_lo, 0, v8
	v_lshl_or_b32 v14, v16, 12, v6
	v_cndmask_b32_e64 v8, 0, 1, vcc_lo
	v_cmp_ne_u32_e32 vcc_lo, 0, v4
	v_and_or_b32 v8, 0xffe, v18, v8
	v_cndmask_b32_e64 v4, 0, 1, vcc_lo
	v_cmp_gt_i32_e32 vcc_lo, 1, v16
	s_waitcnt lgkmcnt(0)
	v_lshrrev_b32_e32 v18, 16, v2
	v_mul_f64 v[10:11], v[10:11], s[6:7]
	v_or_b32_e32 v21, 0x1000, v8
	v_lshl_or_b32 v4, v4, 9, 0x7c00
	v_cndmask_b32_e32 v12, v14, v12, vcc_lo
	v_sub_nc_u32_e32 v14, 0x3f1, v19
	v_cmp_eq_u32_e32 vcc_lo, 0x40f, v15
	v_mul_f16_sdwa v22, v44, v18 dst_sel:DWORD dst_unused:UNUSED_PAD src0_sel:WORD_1 src1_sel:DWORD
	v_add_nc_u32_e32 v19, 0xfffffc10, v19
	v_and_b32_e32 v20, 7, v12
	v_med3_i32 v14, v14, 0, 13
	v_cndmask_b32_e32 v4, v13, v4, vcc_lo
	v_fmac_f16_e32 v22, v44, v2
	v_mul_f16_sdwa v2, v44, v2 dst_sel:DWORD dst_unused:UNUSED_PAD src0_sel:WORD_1 src1_sel:DWORD
	v_cmp_lt_i32_e32 vcc_lo, 5, v20
	v_lshrrev_b32_e32 v13, v14, v21
	v_cmp_eq_u32_e64 s0, 3, v20
	v_and_or_b32 v15, 0x8000, v5, v4
	v_lshrrev_b32_e32 v4, 2, v12
	v_cvt_f32_f16_e32 v12, v22
	v_lshlrev_b32_e32 v5, v14, v13
	s_or_b32 vcc_lo, s0, vcc_lo
	v_fma_f16 v2, v44, v18, -v2
	v_add_co_ci_u32_e32 v14, vcc_lo, 0, v4, vcc_lo
	v_cmp_ne_u32_e32 vcc_lo, v5, v21
	v_cvt_f64_f32_e32 v[4:5], v12
	v_and_or_b32 v10, 0x1ff, v11, v10
	v_cvt_f32_f16_e32 v2, v2
	v_cndmask_b32_e64 v20, 0, 1, vcc_lo
	v_cmp_ne_u32_e32 vcc_lo, 0, v6
	v_or_b32_e32 v12, v13, v20
	v_cndmask_b32_e64 v6, 0, 1, vcc_lo
	v_cmp_gt_i32_e32 vcc_lo, 31, v16
	v_lshl_or_b32 v13, v19, 12, v8
	v_bfe_u32 v20, v11, 20, 11
	v_lshl_or_b32 v6, v6, 9, 0x7c00
	v_cndmask_b32_e32 v14, 0x7c00, v14, vcc_lo
	v_cmp_gt_i32_e32 vcc_lo, 1, v19
	v_cndmask_b32_e32 v12, v13, v12, vcc_lo
	v_cmp_ne_u32_e32 vcc_lo, 0, v10
	v_lshrrev_b32_e32 v13, 8, v11
	v_mul_f64 v[4:5], v[4:5], s[6:7]
	v_and_b32_e32 v21, 7, v12
	v_cndmask_b32_e64 v10, 0, 1, vcc_lo
	v_cmp_eq_u32_e32 vcc_lo, 0x40f, v16
	v_cmp_eq_u32_e64 s0, 3, v21
	v_and_or_b32 v10, 0xffe, v13, v10
	v_cndmask_b32_e32 v6, v14, v6, vcc_lo
	v_sub_nc_u32_e32 v13, 0x3f1, v20
	v_cmp_lt_i32_e32 vcc_lo, 5, v21
	v_or_b32_e32 v14, 0x1000, v10
	v_and_or_b32 v6, 0x8000, v7, v6
	v_lshrrev_b32_e32 v7, 2, v12
	v_med3_i32 v13, v13, 0, 13
	s_or_b32 vcc_lo, s0, vcc_lo
	v_and_b32_e32 v12, 0xffff, v15
	v_add_co_ci_u32_e32 v7, vcc_lo, 0, v7, vcc_lo
	v_lshrrev_b32_e32 v15, v13, v14
	v_cmp_ne_u32_e32 vcc_lo, 0, v8
	v_lshl_or_b32 v16, v6, 16, v12
	v_and_or_b32 v4, 0x1ff, v5, v4
	v_bfe_u32 v18, v5, 20, 11
	v_lshlrev_b32_e32 v6, v13, v15
	v_cndmask_b32_e64 v8, 0, 1, vcc_lo
	v_cmp_gt_i32_e32 vcc_lo, 31, v19
	v_lshl_or_b32 v8, v8, 9, 0x7c00
	v_cndmask_b32_e32 v7, 0x7c00, v7, vcc_lo
	v_cmp_ne_u32_e32 vcc_lo, v6, v14
	v_add_nc_u32_e32 v14, 0xfffffc10, v20
	v_cndmask_b32_e64 v6, 0, 1, vcc_lo
	v_cmp_eq_u32_e32 vcc_lo, 0x40f, v19
	v_lshl_or_b32 v13, v14, 12, v10
	v_cndmask_b32_e32 v12, v7, v8, vcc_lo
	v_cmp_ne_u32_e32 vcc_lo, 0, v4
	v_or_b32_e32 v8, v15, v6
	v_lshrrev_b32_e32 v15, 8, v5
	v_cvt_f64_f32_e32 v[6:7], v2
	v_lshrrev_b32_e32 v5, 16, v5
	v_cndmask_b32_e64 v4, 0, 1, vcc_lo
	v_cmp_gt_i32_e32 vcc_lo, 1, v14
	v_and_or_b32 v4, 0xffe, v15, v4
	v_cndmask_b32_e32 v2, v13, v8, vcc_lo
	v_sub_nc_u32_e32 v8, 0x3f1, v18
	v_lshrrev_b32_e32 v15, 16, v3
	v_lshrrev_b32_e32 v13, 16, v9
	v_or_b32_e32 v20, 0x1000, v4
	v_and_b32_e32 v19, 7, v2
	v_med3_i32 v21, v8, 0, 13
	v_mul_f16_sdwa v22, v43, v15 dst_sel:DWORD dst_unused:UNUSED_PAD src0_sel:WORD_1 src1_sel:DWORD
	v_add_co_u32 v8, vcc_lo, v0, s3
	v_add_co_ci_u32_e32 v9, vcc_lo, s2, v1, vcc_lo
	v_lshrrev_b32_e32 v24, v21, v20
	v_cmp_lt_i32_e32 vcc_lo, 5, v19
	v_cmp_eq_u32_e64 s0, 3, v19
	v_fmac_f16_e32 v22, v43, v3
	v_lshrrev_b32_e32 v2, 2, v2
	v_lshlrev_b32_e32 v19, v21, v24
	v_and_or_b32 v23, 0x8000, v13, v12
	s_or_b32 vcc_lo, s0, vcc_lo
	v_cvt_f32_f16_e32 v12, v22
	v_add_co_ci_u32_e32 v2, vcc_lo, 0, v2, vcc_lo
	v_mul_f64 v[6:7], v[6:7], s[6:7]
	v_cmp_ne_u32_e32 vcc_lo, v19, v20
	v_cvt_f64_f32_e32 v[12:13], v12
	v_add_nc_u32_e32 v18, 0xfffffc10, v18
	v_mul_f16_sdwa v3, v43, v3 dst_sel:DWORD dst_unused:UNUSED_PAD src0_sel:WORD_1 src1_sel:DWORD
	v_cndmask_b32_e64 v19, 0, 1, vcc_lo
	v_cmp_ne_u32_e32 vcc_lo, 0, v10
	v_lshl_or_b32 v20, v18, 12, v4
	v_fma_f16 v3, v43, v15, -v3
	v_or_b32_e32 v19, v24, v19
	v_cndmask_b32_e64 v10, 0, 1, vcc_lo
	v_cmp_gt_i32_e32 vcc_lo, 31, v14
	v_cvt_f32_f16_e32 v3, v3
	v_lshl_or_b32 v10, v10, 9, 0x7c00
	v_cndmask_b32_e32 v2, 0x7c00, v2, vcc_lo
	v_cmp_gt_i32_e32 vcc_lo, 1, v18
	v_and_or_b32 v6, 0x1ff, v7, v6
	v_cndmask_b32_e32 v15, v20, v19, vcc_lo
	v_cmp_eq_u32_e32 vcc_lo, 0x40f, v14
	v_lshrrev_b32_e32 v19, 16, v11
	v_and_b32_e32 v20, 7, v15
	v_cndmask_b32_e32 v14, v2, v10, vcc_lo
	v_mul_f64 v[10:11], v[12:13], s[6:7]
	v_cvt_f64_f32_e32 v[2:3], v3
	v_cmp_ne_u32_e32 vcc_lo, 0, v6
	v_lshrrev_b32_e32 v12, 8, v7
	v_bfe_u32 v13, v7, 20, 11
	v_cmp_eq_u32_e64 s0, 3, v20
	v_lshrrev_b32_e32 v15, 2, v15
	v_cndmask_b32_e64 v6, 0, 1, vcc_lo
	v_cmp_lt_i32_e32 vcc_lo, 5, v20
	v_and_or_b32 v14, 0x8000, v19, v14
	v_and_b32_e32 v19, 0xffff, v23
	v_lshrrev_b32_e32 v7, 16, v7
	v_and_or_b32 v6, 0xffe, v12, v6
	v_sub_nc_u32_e32 v12, 0x3f1, v13
	s_or_b32 vcc_lo, s0, vcc_lo
	v_lshl_or_b32 v14, v14, 16, v19
	v_add_co_ci_u32_e32 v15, vcc_lo, 0, v15, vcc_lo
	v_or_b32_e32 v19, 0x1000, v6
	v_med3_i32 v12, v12, 0, 13
	v_cmp_ne_u32_e32 vcc_lo, 0, v4
	v_add_nc_u32_e32 v13, 0xfffffc10, v13
	v_and_or_b32 v10, 0x1ff, v11, v10
	v_mul_f64 v[2:3], v[2:3], s[6:7]
	v_lshrrev_b32_e32 v20, v12, v19
	v_cndmask_b32_e64 v4, 0, 1, vcc_lo
	v_cmp_gt_i32_e32 vcc_lo, 31, v18
	v_lshrrev_b32_e32 v21, 8, v11
	v_bfe_u32 v22, v11, 20, 11
	v_lshlrev_b32_e32 v12, v12, v20
	v_lshl_or_b32 v4, v4, 9, 0x7c00
	v_cndmask_b32_e32 v15, 0x7c00, v15, vcc_lo
	v_cmp_ne_u32_e32 vcc_lo, 0, v10
	v_lshrrev_b32_e32 v11, 16, v11
	v_cndmask_b32_e64 v10, 0, 1, vcc_lo
	v_cmp_ne_u32_e32 vcc_lo, v12, v19
	v_sub_nc_u32_e32 v19, 0x3f1, v22
	v_and_or_b32 v10, 0xffe, v21, v10
	v_cndmask_b32_e64 v12, 0, 1, vcc_lo
	v_cmp_eq_u32_e32 vcc_lo, 0x40f, v18
	v_med3_i32 v19, v19, 0, 13
	v_and_or_b32 v2, 0x1ff, v3, v2
	v_or_b32_e32 v18, 0x1000, v10
	v_or_b32_e32 v12, v20, v12
	v_cndmask_b32_e32 v4, v15, v4, vcc_lo
	v_lshl_or_b32 v15, v13, 12, v6
	v_cmp_gt_i32_e32 vcc_lo, 1, v13
	v_lshrrev_b32_e32 v20, 8, v3
	v_bfe_u32 v21, v3, 20, 11
	v_and_or_b32 v4, 0x8000, v5, v4
	v_cndmask_b32_e32 v12, v15, v12, vcc_lo
	v_lshrrev_b32_e32 v15, v19, v18
	v_cmp_ne_u32_e32 vcc_lo, 0, v2
	v_sub_nc_u32_e32 v5, 0x3f1, v21
	v_and_b32_e32 v4, 0xffff, v4
	v_and_b32_e32 v23, 7, v12
	v_lshlrev_b32_e32 v19, v19, v15
	v_cndmask_b32_e64 v2, 0, 1, vcc_lo
	v_lshrrev_b32_e32 v12, 2, v12
	v_med3_i32 v5, v5, 0, 13
	v_cmp_lt_i32_e32 vcc_lo, 5, v23
	v_cmp_ne_u32_e64 s0, v19, v18
	v_and_or_b32 v2, 0xffe, v20, v2
	v_add_nc_u32_e32 v20, 0xfffffc10, v22
	v_cndmask_b32_e64 v18, 0, 1, s0
	v_cmp_eq_u32_e64 s0, 3, v23
	v_or_b32_e32 v19, 0x1000, v2
	v_lshl_or_b32 v22, v20, 12, v10
	v_or_b32_e32 v15, v15, v18
	s_or_b32 vcc_lo, s0, vcc_lo
	v_lshrrev_b32_e32 v18, v5, v19
	v_add_co_ci_u32_e32 v12, vcc_lo, 0, v12, vcc_lo
	v_cmp_gt_i32_e32 vcc_lo, 1, v20
	v_lshlrev_b32_e32 v5, v5, v18
	v_cndmask_b32_e32 v15, v22, v15, vcc_lo
	v_cmp_ne_u32_e32 vcc_lo, 0, v6
	v_cndmask_b32_e64 v6, 0, 1, vcc_lo
	v_cmp_ne_u32_e32 vcc_lo, v5, v19
	v_add_nc_u32_e32 v19, 0xfffffc10, v21
	v_and_b32_e32 v21, 7, v15
	v_lshl_or_b32 v6, v6, 9, 0x7c00
	v_cndmask_b32_e64 v5, 0, 1, vcc_lo
	v_cmp_gt_i32_e32 vcc_lo, 31, v13
	v_cmp_gt_i32_e64 s1, 1, v19
	v_cmp_eq_u32_e64 s0, 3, v21
	v_or_b32_e32 v5, v18, v5
	v_lshl_or_b32 v18, v19, 12, v2
	v_cndmask_b32_e32 v12, 0x7c00, v12, vcc_lo
	v_cmp_lt_i32_e32 vcc_lo, 5, v21
	v_cndmask_b32_e64 v5, v18, v5, s1
	v_cmp_eq_u32_e64 s1, 0x40f, v13
	s_or_b32 vcc_lo, s0, vcc_lo
	v_and_b32_e32 v13, 7, v5
	v_cndmask_b32_e64 v6, v12, v6, s1
	v_lshrrev_b32_e32 v12, 2, v15
	v_lshrrev_b32_e32 v5, 2, v5
	v_cmp_gt_i32_e64 s1, 31, v20
	v_cmp_eq_u32_e64 s0, 3, v13
	v_and_or_b32 v6, 0x8000, v7, v6
	v_add_co_ci_u32_e32 v12, vcc_lo, 0, v12, vcc_lo
	v_cmp_ne_u32_e32 vcc_lo, 0, v10
	v_cndmask_b32_e64 v12, 0x7c00, v12, s1
	v_cndmask_b32_e64 v10, 0, 1, vcc_lo
	v_cmp_lt_i32_e32 vcc_lo, 5, v13
	v_lshl_or_b32 v10, v10, 9, 0x7c00
	s_or_b32 vcc_lo, s0, vcc_lo
	v_add_co_ci_u32_e32 v5, vcc_lo, 0, v5, vcc_lo
	v_cmp_ne_u32_e32 vcc_lo, 0, v2
	v_cndmask_b32_e64 v2, 0, 1, vcc_lo
	v_cmp_eq_u32_e32 vcc_lo, 0x40f, v20
	v_lshl_or_b32 v2, v2, 9, 0x7c00
	v_cndmask_b32_e32 v10, v12, v10, vcc_lo
	v_cmp_gt_i32_e32 vcc_lo, 31, v19
	v_and_or_b32 v7, 0x8000, v11, v10
	v_cndmask_b32_e32 v5, 0x7c00, v5, vcc_lo
	v_cmp_eq_u32_e32 vcc_lo, 0x40f, v19
	v_lshrrev_b32_e32 v10, 16, v3
	v_lshl_or_b32 v11, v6, 16, v4
	v_and_b32_e32 v7, 0xffff, v7
	v_cndmask_b32_e32 v5, v5, v2, vcc_lo
	v_add_co_u32 v2, vcc_lo, v8, s3
	v_add_co_ci_u32_e32 v3, vcc_lo, s2, v9, vcc_lo
	v_and_or_b32 v6, 0x8000, v10, v5
	v_add_co_u32 v4, vcc_lo, v2, s3
	v_add_co_ci_u32_e32 v5, vcc_lo, s2, v3, vcc_lo
	v_lshl_or_b32 v10, v6, 16, v7
	v_add_co_u32 v6, vcc_lo, v4, s3
	v_add_co_ci_u32_e32 v7, vcc_lo, s2, v5, vcc_lo
	global_store_dword v[0:1], v17, off
	global_store_dword v[8:9], v16, off
	;; [unrolled: 1-line block ×5, first 2 shown]
.LBB0_10:
	s_endpgm
	.section	.rodata,"a",@progbits
	.p2align	6, 0x0
	.amdhsa_kernel bluestein_single_fwd_len272_dim1_half_op_CI_CI
		.amdhsa_group_segment_fixed_size 7616
		.amdhsa_private_segment_fixed_size 0
		.amdhsa_kernarg_size 104
		.amdhsa_user_sgpr_count 6
		.amdhsa_user_sgpr_private_segment_buffer 1
		.amdhsa_user_sgpr_dispatch_ptr 0
		.amdhsa_user_sgpr_queue_ptr 0
		.amdhsa_user_sgpr_kernarg_segment_ptr 1
		.amdhsa_user_sgpr_dispatch_id 0
		.amdhsa_user_sgpr_flat_scratch_init 0
		.amdhsa_user_sgpr_private_segment_size 0
		.amdhsa_wavefront_size32 1
		.amdhsa_uses_dynamic_stack 0
		.amdhsa_system_sgpr_private_segment_wavefront_offset 0
		.amdhsa_system_sgpr_workgroup_id_x 1
		.amdhsa_system_sgpr_workgroup_id_y 0
		.amdhsa_system_sgpr_workgroup_id_z 0
		.amdhsa_system_sgpr_workgroup_info 0
		.amdhsa_system_vgpr_workitem_id 0
		.amdhsa_next_free_vgpr 247
		.amdhsa_next_free_sgpr 20
		.amdhsa_reserve_vcc 1
		.amdhsa_reserve_flat_scratch 0
		.amdhsa_float_round_mode_32 0
		.amdhsa_float_round_mode_16_64 0
		.amdhsa_float_denorm_mode_32 3
		.amdhsa_float_denorm_mode_16_64 3
		.amdhsa_dx10_clamp 1
		.amdhsa_ieee_mode 1
		.amdhsa_fp16_overflow 0
		.amdhsa_workgroup_processor_mode 1
		.amdhsa_memory_ordered 1
		.amdhsa_forward_progress 0
		.amdhsa_shared_vgpr_count 0
		.amdhsa_exception_fp_ieee_invalid_op 0
		.amdhsa_exception_fp_denorm_src 0
		.amdhsa_exception_fp_ieee_div_zero 0
		.amdhsa_exception_fp_ieee_overflow 0
		.amdhsa_exception_fp_ieee_underflow 0
		.amdhsa_exception_fp_ieee_inexact 0
		.amdhsa_exception_int_div_zero 0
	.end_amdhsa_kernel
	.text
.Lfunc_end0:
	.size	bluestein_single_fwd_len272_dim1_half_op_CI_CI, .Lfunc_end0-bluestein_single_fwd_len272_dim1_half_op_CI_CI
                                        ; -- End function
	.section	.AMDGPU.csdata,"",@progbits
; Kernel info:
; codeLenInByte = 25060
; NumSgprs: 22
; NumVgprs: 247
; ScratchSize: 0
; MemoryBound: 0
; FloatMode: 240
; IeeeMode: 1
; LDSByteSize: 7616 bytes/workgroup (compile time only)
; SGPRBlocks: 2
; VGPRBlocks: 30
; NumSGPRsForWavesPerEU: 22
; NumVGPRsForWavesPerEU: 247
; Occupancy: 4
; WaveLimiterHint : 1
; COMPUTE_PGM_RSRC2:SCRATCH_EN: 0
; COMPUTE_PGM_RSRC2:USER_SGPR: 6
; COMPUTE_PGM_RSRC2:TRAP_HANDLER: 0
; COMPUTE_PGM_RSRC2:TGID_X_EN: 1
; COMPUTE_PGM_RSRC2:TGID_Y_EN: 0
; COMPUTE_PGM_RSRC2:TGID_Z_EN: 0
; COMPUTE_PGM_RSRC2:TIDIG_COMP_CNT: 0
	.text
	.p2alignl 6, 3214868480
	.fill 48, 4, 3214868480
	.type	__hip_cuid_671dc0d709d1b175,@object ; @__hip_cuid_671dc0d709d1b175
	.section	.bss,"aw",@nobits
	.globl	__hip_cuid_671dc0d709d1b175
__hip_cuid_671dc0d709d1b175:
	.byte	0                               ; 0x0
	.size	__hip_cuid_671dc0d709d1b175, 1

	.ident	"AMD clang version 19.0.0git (https://github.com/RadeonOpenCompute/llvm-project roc-6.4.0 25133 c7fe45cf4b819c5991fe208aaa96edf142730f1d)"
	.section	".note.GNU-stack","",@progbits
	.addrsig
	.addrsig_sym __hip_cuid_671dc0d709d1b175
	.amdgpu_metadata
---
amdhsa.kernels:
  - .args:
      - .actual_access:  read_only
        .address_space:  global
        .offset:         0
        .size:           8
        .value_kind:     global_buffer
      - .actual_access:  read_only
        .address_space:  global
        .offset:         8
        .size:           8
        .value_kind:     global_buffer
      - .actual_access:  read_only
        .address_space:  global
        .offset:         16
        .size:           8
        .value_kind:     global_buffer
      - .actual_access:  read_only
        .address_space:  global
        .offset:         24
        .size:           8
        .value_kind:     global_buffer
      - .actual_access:  read_only
        .address_space:  global
        .offset:         32
        .size:           8
        .value_kind:     global_buffer
      - .offset:         40
        .size:           8
        .value_kind:     by_value
      - .address_space:  global
        .offset:         48
        .size:           8
        .value_kind:     global_buffer
      - .address_space:  global
        .offset:         56
        .size:           8
        .value_kind:     global_buffer
      - .address_space:  global
        .offset:         64
        .size:           8
        .value_kind:     global_buffer
      - .address_space:  global
        .offset:         72
        .size:           8
        .value_kind:     global_buffer
      - .offset:         80
        .size:           4
        .value_kind:     by_value
      - .address_space:  global
        .offset:         88
        .size:           8
        .value_kind:     global_buffer
      - .address_space:  global
        .offset:         96
        .size:           8
        .value_kind:     global_buffer
    .group_segment_fixed_size: 7616
    .kernarg_segment_align: 8
    .kernarg_segment_size: 104
    .language:       OpenCL C
    .language_version:
      - 2
      - 0
    .max_flat_workgroup_size: 119
    .name:           bluestein_single_fwd_len272_dim1_half_op_CI_CI
    .private_segment_fixed_size: 0
    .sgpr_count:     22
    .sgpr_spill_count: 0
    .symbol:         bluestein_single_fwd_len272_dim1_half_op_CI_CI.kd
    .uniform_work_group_size: 1
    .uses_dynamic_stack: false
    .vgpr_count:     247
    .vgpr_spill_count: 0
    .wavefront_size: 32
    .workgroup_processor_mode: 1
amdhsa.target:   amdgcn-amd-amdhsa--gfx1030
amdhsa.version:
  - 1
  - 2
...

	.end_amdgpu_metadata
